;; amdgpu-corpus repo=ROCm/rocFFT kind=compiled arch=gfx950 opt=O3
	.text
	.amdgcn_target "amdgcn-amd-amdhsa--gfx950"
	.amdhsa_code_object_version 6
	.protected	fft_rtc_fwd_len1890_factors_2_3_3_3_7_5_wgs_126_tpt_126_halfLds_sp_ip_CI_unitstride_sbrr_R2C_dirReg ; -- Begin function fft_rtc_fwd_len1890_factors_2_3_3_3_7_5_wgs_126_tpt_126_halfLds_sp_ip_CI_unitstride_sbrr_R2C_dirReg
	.globl	fft_rtc_fwd_len1890_factors_2_3_3_3_7_5_wgs_126_tpt_126_halfLds_sp_ip_CI_unitstride_sbrr_R2C_dirReg
	.p2align	8
	.type	fft_rtc_fwd_len1890_factors_2_3_3_3_7_5_wgs_126_tpt_126_halfLds_sp_ip_CI_unitstride_sbrr_R2C_dirReg,@function
fft_rtc_fwd_len1890_factors_2_3_3_3_7_5_wgs_126_tpt_126_halfLds_sp_ip_CI_unitstride_sbrr_R2C_dirReg: ; @fft_rtc_fwd_len1890_factors_2_3_3_3_7_5_wgs_126_tpt_126_halfLds_sp_ip_CI_unitstride_sbrr_R2C_dirReg
; %bb.0:
	s_load_dwordx2 s[8:9], s[0:1], 0x50
	s_load_dwordx4 s[4:7], s[0:1], 0x0
	s_load_dwordx2 s[10:11], s[0:1], 0x18
	v_mul_u32_u24_e32 v1, 0x209, v0
	v_add_u32_sdwa v6, s2, v1 dst_sel:DWORD dst_unused:UNUSED_PAD src0_sel:DWORD src1_sel:WORD_1
	v_mov_b32_e32 v4, 0
	s_waitcnt lgkmcnt(0)
	v_cmp_lt_u64_e64 s[2:3], s[6:7], 2
	v_mov_b32_e32 v7, v4
	s_and_b64 vcc, exec, s[2:3]
	v_mov_b64_e32 v[2:3], 0
	s_cbranch_vccnz .LBB0_8
; %bb.1:
	s_load_dwordx2 s[2:3], s[0:1], 0x10
	s_add_u32 s12, s10, 8
	s_addc_u32 s13, s11, 0
	s_mov_b64 s[14:15], 1
	v_mov_b64_e32 v[2:3], 0
	s_waitcnt lgkmcnt(0)
	s_add_u32 s16, s2, 8
	s_addc_u32 s17, s3, 0
.LBB0_2:                                ; =>This Inner Loop Header: Depth=1
	s_load_dwordx2 s[18:19], s[16:17], 0x0
                                        ; implicit-def: $vgpr8_vgpr9
	s_waitcnt lgkmcnt(0)
	v_or_b32_e32 v5, s19, v7
	v_cmp_ne_u64_e32 vcc, 0, v[4:5]
	s_and_saveexec_b64 s[2:3], vcc
	s_xor_b64 s[20:21], exec, s[2:3]
	s_cbranch_execz .LBB0_4
; %bb.3:                                ;   in Loop: Header=BB0_2 Depth=1
	v_cvt_f32_u32_e32 v1, s18
	v_cvt_f32_u32_e32 v5, s19
	s_sub_u32 s2, 0, s18
	s_subb_u32 s3, 0, s19
	v_fmac_f32_e32 v1, 0x4f800000, v5
	v_rcp_f32_e32 v1, v1
	s_nop 0
	v_mul_f32_e32 v1, 0x5f7ffffc, v1
	v_mul_f32_e32 v5, 0x2f800000, v1
	v_trunc_f32_e32 v5, v5
	v_fmac_f32_e32 v1, 0xcf800000, v5
	v_cvt_u32_f32_e32 v5, v5
	v_cvt_u32_f32_e32 v1, v1
	v_mul_lo_u32 v8, s2, v5
	v_mul_hi_u32 v10, s2, v1
	v_mul_lo_u32 v9, s3, v1
	v_add_u32_e32 v10, v10, v8
	v_mul_lo_u32 v12, s2, v1
	v_add_u32_e32 v13, v10, v9
	v_mul_hi_u32 v8, v1, v12
	v_mul_hi_u32 v11, v1, v13
	v_mul_lo_u32 v10, v1, v13
	v_mov_b32_e32 v9, v4
	v_lshl_add_u64 v[8:9], v[8:9], 0, v[10:11]
	v_mul_hi_u32 v11, v5, v12
	v_mul_lo_u32 v12, v5, v12
	v_add_co_u32_e32 v8, vcc, v8, v12
	v_mul_hi_u32 v10, v5, v13
	s_nop 0
	v_addc_co_u32_e32 v8, vcc, v9, v11, vcc
	v_mov_b32_e32 v9, v4
	s_nop 0
	v_addc_co_u32_e32 v11, vcc, 0, v10, vcc
	v_mul_lo_u32 v10, v5, v13
	v_lshl_add_u64 v[8:9], v[8:9], 0, v[10:11]
	v_add_co_u32_e32 v1, vcc, v1, v8
	v_mul_lo_u32 v10, s2, v1
	s_nop 0
	v_addc_co_u32_e32 v5, vcc, v5, v9, vcc
	v_mul_lo_u32 v8, s2, v5
	v_mul_hi_u32 v9, s2, v1
	v_add_u32_e32 v8, v9, v8
	v_mul_lo_u32 v9, s3, v1
	v_add_u32_e32 v12, v8, v9
	v_mul_hi_u32 v14, v5, v10
	v_mul_lo_u32 v15, v5, v10
	v_mul_hi_u32 v9, v1, v12
	v_mul_lo_u32 v8, v1, v12
	v_mul_hi_u32 v10, v1, v10
	v_mov_b32_e32 v11, v4
	v_lshl_add_u64 v[8:9], v[10:11], 0, v[8:9]
	v_add_co_u32_e32 v8, vcc, v8, v15
	v_mul_hi_u32 v13, v5, v12
	s_nop 0
	v_addc_co_u32_e32 v8, vcc, v9, v14, vcc
	v_mul_lo_u32 v10, v5, v12
	s_nop 0
	v_addc_co_u32_e32 v11, vcc, 0, v13, vcc
	v_mov_b32_e32 v9, v4
	v_lshl_add_u64 v[8:9], v[8:9], 0, v[10:11]
	v_add_co_u32_e32 v1, vcc, v1, v8
	v_mul_hi_u32 v10, v6, v1
	s_nop 0
	v_addc_co_u32_e32 v5, vcc, v5, v9, vcc
	v_mad_u64_u32 v[8:9], s[2:3], v6, v5, 0
	v_mov_b32_e32 v11, v4
	v_lshl_add_u64 v[8:9], v[10:11], 0, v[8:9]
	v_mad_u64_u32 v[12:13], s[2:3], v7, v1, 0
	v_add_co_u32_e32 v1, vcc, v8, v12
	v_mad_u64_u32 v[10:11], s[2:3], v7, v5, 0
	s_nop 0
	v_addc_co_u32_e32 v8, vcc, v9, v13, vcc
	v_mov_b32_e32 v9, v4
	s_nop 0
	v_addc_co_u32_e32 v11, vcc, 0, v11, vcc
	v_lshl_add_u64 v[8:9], v[8:9], 0, v[10:11]
	v_mul_lo_u32 v1, s19, v8
	v_mul_lo_u32 v5, s18, v9
	v_mad_u64_u32 v[10:11], s[2:3], s18, v8, 0
	v_add3_u32 v1, v11, v5, v1
	v_sub_u32_e32 v5, v7, v1
	v_mov_b32_e32 v11, s19
	v_sub_co_u32_e32 v14, vcc, v6, v10
	v_lshl_add_u64 v[12:13], v[8:9], 0, 1
	s_nop 0
	v_subb_co_u32_e64 v5, s[2:3], v5, v11, vcc
	v_subrev_co_u32_e64 v10, s[2:3], s18, v14
	v_subb_co_u32_e32 v1, vcc, v7, v1, vcc
	s_nop 0
	v_subbrev_co_u32_e64 v5, s[2:3], 0, v5, s[2:3]
	v_cmp_le_u32_e64 s[2:3], s19, v5
	v_cmp_le_u32_e32 vcc, s19, v1
	s_nop 0
	v_cndmask_b32_e64 v11, 0, -1, s[2:3]
	v_cmp_le_u32_e64 s[2:3], s18, v10
	s_nop 1
	v_cndmask_b32_e64 v10, 0, -1, s[2:3]
	v_cmp_eq_u32_e64 s[2:3], s19, v5
	s_nop 1
	v_cndmask_b32_e64 v5, v11, v10, s[2:3]
	v_lshl_add_u64 v[10:11], v[8:9], 0, 2
	v_cmp_ne_u32_e64 s[2:3], 0, v5
	s_nop 1
	v_cndmask_b32_e64 v5, v13, v11, s[2:3]
	v_cndmask_b32_e64 v11, 0, -1, vcc
	v_cmp_le_u32_e32 vcc, s18, v14
	s_nop 1
	v_cndmask_b32_e64 v13, 0, -1, vcc
	v_cmp_eq_u32_e32 vcc, s19, v1
	s_nop 1
	v_cndmask_b32_e32 v1, v11, v13, vcc
	v_cmp_ne_u32_e32 vcc, 0, v1
	v_cndmask_b32_e64 v1, v12, v10, s[2:3]
	s_nop 0
	v_cndmask_b32_e32 v9, v9, v5, vcc
	v_cndmask_b32_e32 v8, v8, v1, vcc
.LBB0_4:                                ;   in Loop: Header=BB0_2 Depth=1
	s_andn2_saveexec_b64 s[2:3], s[20:21]
	s_cbranch_execz .LBB0_6
; %bb.5:                                ;   in Loop: Header=BB0_2 Depth=1
	v_cvt_f32_u32_e32 v1, s18
	s_sub_i32 s20, 0, s18
	v_rcp_iflag_f32_e32 v1, v1
	s_nop 0
	v_mul_f32_e32 v1, 0x4f7ffffe, v1
	v_cvt_u32_f32_e32 v1, v1
	v_mul_lo_u32 v5, s20, v1
	v_mul_hi_u32 v5, v1, v5
	v_add_u32_e32 v1, v1, v5
	v_mul_hi_u32 v1, v6, v1
	v_mul_lo_u32 v5, v1, s18
	v_sub_u32_e32 v5, v6, v5
	v_add_u32_e32 v8, 1, v1
	v_subrev_u32_e32 v9, s18, v5
	v_cmp_le_u32_e32 vcc, s18, v5
	s_nop 1
	v_cndmask_b32_e32 v5, v5, v9, vcc
	v_cndmask_b32_e32 v1, v1, v8, vcc
	v_add_u32_e32 v8, 1, v1
	v_cmp_le_u32_e32 vcc, s18, v5
	v_mov_b32_e32 v9, v4
	s_nop 0
	v_cndmask_b32_e32 v8, v1, v8, vcc
.LBB0_6:                                ;   in Loop: Header=BB0_2 Depth=1
	s_or_b64 exec, exec, s[2:3]
	v_mad_u64_u32 v[10:11], s[2:3], v8, s18, 0
	s_load_dwordx2 s[2:3], s[12:13], 0x0
	v_mul_lo_u32 v1, v9, s18
	v_mul_lo_u32 v5, v8, s19
	v_add3_u32 v1, v11, v5, v1
	v_sub_co_u32_e32 v5, vcc, v6, v10
	s_add_u32 s14, s14, 1
	s_nop 0
	v_subb_co_u32_e32 v1, vcc, v7, v1, vcc
	s_addc_u32 s15, s15, 0
	s_waitcnt lgkmcnt(0)
	v_mul_lo_u32 v1, s2, v1
	v_mul_lo_u32 v6, s3, v5
	v_mad_u64_u32 v[2:3], s[2:3], s2, v5, v[2:3]
	s_add_u32 s12, s12, 8
	v_add3_u32 v3, v6, v3, v1
	s_addc_u32 s13, s13, 0
	v_mov_b64_e32 v[6:7], s[6:7]
	s_add_u32 s16, s16, 8
	v_cmp_ge_u64_e32 vcc, s[14:15], v[6:7]
	s_addc_u32 s17, s17, 0
	s_cbranch_vccnz .LBB0_9
; %bb.7:                                ;   in Loop: Header=BB0_2 Depth=1
	v_mov_b64_e32 v[6:7], v[8:9]
	s_branch .LBB0_2
.LBB0_8:
	v_mov_b64_e32 v[8:9], v[6:7]
.LBB0_9:
	s_lshl_b64 s[2:3], s[6:7], 3
	s_add_u32 s2, s10, s2
	s_addc_u32 s3, s11, s3
	s_load_dwordx2 s[6:7], s[2:3], 0x0
	s_load_dwordx2 s[10:11], s[0:1], 0x20
	s_mov_b32 s2, 0x2082083
                                        ; implicit-def: $vgpr34_vgpr35
                                        ; implicit-def: $vgpr28
                                        ; implicit-def: $vgpr36
                                        ; implicit-def: $vgpr32
                                        ; implicit-def: $vgpr30
                                        ; implicit-def: $vgpr38
	s_waitcnt lgkmcnt(0)
	v_mul_lo_u32 v1, s6, v9
	v_mul_lo_u32 v4, s7, v8
	v_mad_u64_u32 v[2:3], s[0:1], s6, v8, v[2:3]
	v_add3_u32 v3, v4, v3, v1
	v_mul_hi_u32 v1, v0, s2
	v_mul_u32_u24_e32 v1, 0x7e, v1
	v_cmp_gt_u64_e64 s[0:1], s[10:11], v[8:9]
	v_cmp_le_u64_e32 vcc, s[10:11], v[8:9]
	v_sub_u32_e32 v24, v0, v1
	s_and_saveexec_b64 s[2:3], vcc
	s_xor_b64 s[2:3], exec, s[2:3]
; %bb.10:
	v_add_u32_e32 v35, 0xfc, v24
	v_add_u32_e32 v28, 0x7e, v24
	;; [unrolled: 1-line block ×6, first 2 shown]
	v_mov_b32_e32 v38, v35
; %bb.11:
	s_or_saveexec_b64 s[2:3], s[2:3]
	v_lshl_add_u64 v[26:27], v[2:3], 3, s[8:9]
	s_xor_b64 exec, exec, s[2:3]
	s_cbranch_execz .LBB0_13
; %bb.12:
	v_mov_b32_e32 v25, 0
	v_add_u32_e32 v35, 0xfc, v24
	v_mov_b32_e32 v6, v35
	v_mov_b32_e32 v7, v25
	v_lshl_add_u64 v[0:1], v[24:25], 3, v[26:27]
	v_add_u32_e32 v34, 0x17a, v24
	v_lshl_add_u64 v[6:7], v[6:7], 3, v[26:27]
	s_movk_i32 s6, 0x1000
	global_load_dwordx2 v[2:3], v[0:1], off
	global_load_dwordx2 v[4:5], v[0:1], off offset:1008
	v_mov_b32_e32 v8, v34
	v_mov_b32_e32 v9, v25
	global_load_dwordx2 v[10:11], v[6:7], off
	global_load_dwordx2 v[12:13], v[0:1], off offset:4032
	v_add_co_u32_e32 v6, vcc, s6, v0
	v_lshl_add_u64 v[8:9], v[8:9], 3, v[26:27]
	s_nop 0
	v_addc_co_u32_e32 v7, vcc, 0, v1, vcc
	s_movk_i32 s6, 0x2000
	global_load_dwordx2 v[14:15], v[8:9], off
	global_load_dwordx2 v[16:17], v[6:7], off offset:944
	global_load_dwordx2 v[18:19], v[6:7], off offset:1952
	;; [unrolled: 1-line block ×3, first 2 shown]
	v_add_co_u32_e32 v8, vcc, s6, v0
	v_add_u32_e32 v28, 0x7e, v24
	s_nop 0
	v_addc_co_u32_e32 v9, vcc, 0, v1, vcc
	v_add_co_u32_e32 v0, vcc, 0x3000, v0
	global_load_dwordx2 v[22:23], v[6:7], off offset:3968
	global_load_dwordx2 v[38:39], v[8:9], off offset:880
	;; [unrolled: 1-line block ×4, first 2 shown]
	v_addc_co_u32_e32 v1, vcc, 0, v1, vcc
	global_load_dwordx2 v[6:7], v[8:9], off offset:3904
	global_load_dwordx2 v[44:45], v[0:1], off offset:816
	;; [unrolled: 1-line block ×3, first 2 shown]
	v_lshl_add_u32 v0, v24, 3, 0
	v_add_u32_e32 v36, 0x1f8, v24
	v_add_u32_e32 v32, 0x276, v24
	;; [unrolled: 1-line block ×3, first 2 shown]
	v_lshl_add_u32 v1, v35, 3, 0
	v_lshl_add_u32 v8, v34, 3, 0
	v_add_u32_e32 v9, 0xc00, v0
	v_add_u32_e32 v25, 0x1400, v0
	v_add_u32_e32 v29, 0x1c00, v0
	v_add_u32_e32 v31, 0x2400, v0
	v_add_u32_e32 v33, 0x2c00, v0
	s_waitcnt vmcnt(13)
	ds_write2_b64 v0, v[2:3], v[4:5] offset1:126
	s_waitcnt vmcnt(12)
	ds_write_b64 v1, v[10:11]
	s_waitcnt vmcnt(10)
	ds_write_b64 v8, v[14:15]
	s_waitcnt vmcnt(9)
	ds_write2_b64 v9, v[12:13], v[16:17] offset0:120 offset1:246
	s_waitcnt vmcnt(7)
	ds_write2_b64 v25, v[18:19], v[20:21] offset0:116 offset1:242
	;; [unrolled: 2-line block ×5, first 2 shown]
	s_waitcnt vmcnt(0)
	ds_write_b64 v0, v[46:47] offset:14112
	v_mov_b32_e32 v38, v35
.LBB0_13:
	s_or_b64 exec, exec, s[2:3]
	v_lshlrev_b32_e32 v25, 3, v24
	v_add_u32_e32 v60, 0, v25
	v_add_u32_e32 v4, 0x1400, v60
	;; [unrolled: 1-line block ×3, first 2 shown]
	s_waitcnt lgkmcnt(0)
	s_barrier
	ds_read2_b64 v[0:3], v4 offset0:116 offset1:242
	ds_read2_b64 v[8:11], v5 offset0:37 offset1:163
	v_add_u32_e32 v5, 0xc00, v60
	v_add_u32_e32 v7, 0x1c00, v60
	;; [unrolled: 1-line block ×4, first 2 shown]
	s_waitcnt lgkmcnt(0)
	v_pk_add_f32 v[40:41], v[2:3], v[10:11] neg_lo:[0,1] neg_hi:[0,1]
	ds_read2_b64 v[10:13], v5 offset0:120 offset1:246
	v_add_u32_e32 v5, 0x2c00, v60
	ds_read2_b64 v[14:17], v5 offset0:41 offset1:167
	ds_read2_b64 v[18:21], v60 offset1:126
	ds_read2_b64 v[44:47], v7 offset0:49 offset1:175
	ds_read2_b64 v[48:51], v6 offset0:124 offset1:250
	v_add_u32_e32 v6, 0x2400, v60
	ds_read2_b64 v[52:55], v6 offset0:45 offset1:171
	v_lshl_add_u32 v31, v28, 4, 0
	s_waitcnt lgkmcnt(2)
	v_pk_add_f32 v[22:23], v[18:19], v[44:45] neg_lo:[0,1] neg_hi:[0,1]
	v_pk_add_f32 v[46:47], v[20:21], v[46:47] neg_lo:[0,1] neg_hi:[0,1]
	v_pk_fma_f32 v[18:19], v[18:19], 2.0, v[22:23] op_sel_hi:[1,0,1] neg_lo:[0,0,1] neg_hi:[0,0,1]
	s_waitcnt lgkmcnt(0)
	s_barrier
	ds_write2_b64 v29, v[18:19], v[22:23] offset1:1
	v_lshl_add_u32 v44, v38, 4, 0
	v_lshl_add_u32 v37, v34, 4, 0
	;; [unrolled: 1-line block ×4, first 2 shown]
	v_pk_add_f32 v[8:9], v[0:1], v[8:9] neg_lo:[0,1] neg_hi:[0,1]
	v_pk_add_f32 v[16:17], v[12:13], v[16:17] neg_lo:[0,1] neg_hi:[0,1]
	;; [unrolled: 1-line block ×5, first 2 shown]
	v_pk_fma_f32 v[20:21], v[20:21], 2.0, v[46:47] op_sel_hi:[1,0,1] neg_lo:[0,0,1] neg_hi:[0,0,1]
	v_cmp_gt_u32_e32 vcc, 63, v24
	v_lshl_add_u32 v29, v30, 4, 0
	v_pk_fma_f32 v[12:13], v[12:13], 2.0, v[16:17] op_sel_hi:[1,0,1] neg_lo:[0,0,1] neg_hi:[0,0,1]
	v_pk_fma_f32 v[10:11], v[10:11], 2.0, v[14:15] op_sel_hi:[1,0,1] neg_lo:[0,0,1] neg_hi:[0,0,1]
	;; [unrolled: 1-line block ×5, first 2 shown]
	ds_write2_b64 v31, v[20:21], v[46:47] offset1:1
	ds_write2_b64 v44, v[48:49], v[22:23] offset1:1
	;; [unrolled: 1-line block ×6, first 2 shown]
	s_and_saveexec_b64 s[2:3], vcc
	s_cbranch_execz .LBB0_15
; %bb.14:
	s_movk_i32 s6, 0x3720
	v_pk_fma_f32 v[0:1], v[2:3], 2.0, v[40:41] op_sel_hi:[1,0,1] neg_lo:[0,0,1] neg_hi:[0,0,1]
	v_add3_u32 v2, v60, v25, s6
	ds_write2_b64 v2, v[0:1], v[40:41] offset1:1
.LBB0_15:
	s_or_b64 exec, exec, s[2:3]
	v_and_b32_e32 v47, 1, v24
	v_lshlrev_b32_e32 v0, 4, v47
	s_waitcnt lgkmcnt(0)
	s_barrier
	global_load_dwordx4 v[8:11], v0, s[4:5]
	ds_read2_b64 v[12:15], v4 offset0:116 offset1:242
	ds_read2_b64 v[16:19], v7 offset0:112 offset1:238
	;; [unrolled: 1-line block ×3, first 2 shown]
	ds_read2_b32 v[42:43], v5 offset0:208 offset1:209
	v_lshlrev_b32_e32 v39, 3, v28
	v_add_u32_e32 v4, 0x3000, v60
	v_lshlrev_b32_e32 v29, 3, v32
	v_lshrrev_b32_e32 v0, 1, v24
	v_lshlrev_b32_e32 v45, 3, v38
	v_sub_u32_e32 v46, v31, v39
	ds_read2_b64 v[48:51], v4 offset0:102 offset1:228
	v_sub_u32_e32 v3, v61, v29
	v_mul_u32_u24_e32 v64, 6, v0
	v_sub_u32_e32 v0, v44, v45
	ds_read_b64 v[52:53], v46
	ds_read_b64 v[54:55], v0
	;; [unrolled: 1-line block ×4, first 2 shown]
	v_or_b32_e32 v68, v64, v47
	v_lshl_add_u32 v90, v68, 3, 0
	s_waitcnt lgkmcnt(5)
	v_mov_b32_e32 v68, v43
	s_mov_b32 s2, 0x3f5db3d7
	v_lshlrev_b32_e32 v33, 3, v36
	v_lshlrev_b32_e32 v63, 3, v34
	v_sub_u32_e32 v2, v62, v33
	v_sub_u32_e32 v1, v37, v63
	ds_read_b64 v[64:65], v2
	ds_read_b64 v[66:67], v1
	s_waitcnt lgkmcnt(0)
	s_barrier
	v_mov_b32_e32 v91, 4
	v_add_u32_e32 v92, 0x1800, v60
	s_waitcnt vmcnt(0)
	v_pk_mul_f32 v[70:71], v[8:9], v[14:15] op_sel:[0,1]
	v_pk_mul_f32 v[72:73], v[18:19], v[8:9] op_sel:[0,1]
	;; [unrolled: 1-line block ×6, first 2 shown]
	v_pk_mul_f32 v[68:69], v[68:69], v[10:11] op_sel_hi:[0,1]
	v_pk_mul_f32 v[84:85], v[8:9], v[56:57] op_sel:[0,1]
	v_pk_fma_f32 v[86:87], v[18:19], v[8:9], v[72:73] op_sel:[0,0,1] op_sel_hi:[1,1,0] neg_lo:[0,0,1] neg_hi:[0,0,1]
	v_pk_fma_f32 v[18:19], v[18:19], v[8:9], v[72:73] op_sel:[0,0,1] op_sel_hi:[1,0,0]
	v_pk_fma_f32 v[72:73], v[16:17], v[8:9], v[74:75] op_sel:[0,0,1] op_sel_hi:[1,1,0] neg_lo:[0,0,1] neg_hi:[0,0,1]
	v_pk_fma_f32 v[16:17], v[16:17], v[8:9], v[74:75] op_sel:[0,0,1] op_sel_hi:[1,0,0]
	v_pk_fma_f32 v[74:75], v[8:9], v[14:15], v[70:71] op_sel:[0,0,1] op_sel_hi:[1,1,0] neg_lo:[0,0,1] neg_hi:[0,0,1]
	v_pk_fma_f32 v[14:15], v[8:9], v[14:15], v[70:71] op_sel:[0,0,1] op_sel_hi:[1,0,0]
	v_pk_fma_f32 v[70:71], v[8:9], v[12:13], v[76:77] op_sel:[0,0,1] op_sel_hi:[1,1,0] neg_lo:[0,0,1] neg_hi:[0,0,1]
	v_pk_fma_f32 v[12:13], v[8:9], v[12:13], v[76:77] op_sel:[0,0,1] op_sel_hi:[1,0,0]
	v_pk_fma_f32 v[76:77], v[10:11], v[22:23], v[78:79] op_sel:[0,0,1] op_sel_hi:[1,1,0] neg_lo:[0,0,1] neg_hi:[0,0,1]
	v_pk_fma_f32 v[22:23], v[10:11], v[22:23], v[78:79] op_sel:[0,0,1] op_sel_hi:[1,0,0]
	v_pk_fma_f32 v[78:79], v[10:11], v[20:21], v[80:81] op_sel:[0,0,1] op_sel_hi:[1,1,0] neg_lo:[0,0,1] neg_hi:[0,0,1]
	v_pk_fma_f32 v[20:21], v[10:11], v[20:21], v[80:81] op_sel:[0,0,1] op_sel_hi:[1,0,0]
	v_pk_fma_f32 v[88:89], v[10:11], v[42:43], v[68:69] op_sel:[0,0,1] op_sel_hi:[1,1,0] neg_lo:[0,0,1] neg_hi:[0,0,1]
	v_pk_fma_f32 v[42:43], v[10:11], v[42:43], v[68:69] op_sel:[0,0,1] op_sel_hi:[1,0,0]
	v_pk_fma_f32 v[68:69], v[8:9], v[56:57], v[84:85] op_sel:[0,0,1] op_sel_hi:[1,1,0] neg_lo:[0,0,1] neg_hi:[0,0,1]
	v_pk_fma_f32 v[8:9], v[8:9], v[56:57], v[84:85] op_sel:[0,0,1] op_sel_hi:[1,0,0]
	v_mov_b32_e32 v82, v11
	v_mov_b32_e32 v69, v9
	;; [unrolled: 1-line block ×3, first 2 shown]
	v_pk_mul_f32 v[80:81], v[50:51], v[82:83] op_sel_hi:[1,0]
	v_pk_mul_f32 v[82:83], v[48:49], v[82:83] op_sel_hi:[1,0]
	v_mov_b32_e32 v71, v13
	v_mov_b32_e32 v77, v23
	v_pk_add_f32 v[12:13], v[68:69], v[78:79]
	v_pk_add_f32 v[20:21], v[68:69], v[78:79] neg_lo:[0,1] neg_hi:[0,1]
	v_pk_fma_f32 v[56:57], v[50:51], v[10:11], v[80:81] op_sel:[0,0,1] op_sel_hi:[1,1,0] neg_lo:[0,0,1] neg_hi:[0,0,1]
	v_pk_fma_f32 v[50:51], v[50:51], v[10:11], v[80:81] op_sel:[0,0,1] op_sel_hi:[1,0,0]
	v_pk_fma_f32 v[80:81], v[48:49], v[10:11], v[82:83] op_sel:[0,0,1] op_sel_hi:[1,1,0] neg_lo:[0,0,1] neg_hi:[0,0,1]
	v_pk_fma_f32 v[10:11], v[48:49], v[10:11], v[82:83] op_sel:[0,0,1] op_sel_hi:[1,0,0]
	v_pk_add_f32 v[48:49], v[70:71], v[76:77]
	v_pk_fma_f32 v[12:13], v[12:13], 0.5, v[58:59] op_sel_hi:[1,0,1] neg_lo:[1,0,0] neg_hi:[1,0,0]
	v_pk_mul_f32 v[20:21], v[20:21], s[2:3] op_sel_hi:[1,0]
	v_pk_add_f32 v[8:9], v[58:59], v[68:69]
	v_pk_add_f32 v[22:23], v[52:53], v[70:71]
	v_pk_fma_f32 v[48:49], v[48:49], 0.5, v[52:53] op_sel_hi:[1,0,1] neg_lo:[1,0,0] neg_hi:[1,0,0]
	v_pk_add_f32 v[52:53], v[12:13], v[20:21] op_sel:[0,1] op_sel_hi:[1,0]
	v_pk_add_f32 v[12:13], v[12:13], v[20:21] op_sel:[0,1] op_sel_hi:[1,0] neg_lo:[0,1] neg_hi:[0,1]
	v_pk_add_f32 v[68:69], v[70:71], v[76:77] neg_lo:[0,1] neg_hi:[0,1]
	v_pk_add_f32 v[8:9], v[8:9], v[78:79]
	v_mov_b32_e32 v20, v52
	v_mov_b32_e32 v21, v13
	;; [unrolled: 1-line block ×3, first 2 shown]
	ds_write2_b64 v90, v[8:9], v[20:21] offset1:2
	ds_write_b64 v90, v[12:13] offset:32
	v_pk_mul_f32 v[8:9], v[68:69], s[2:3] op_sel_hi:[1,0]
	v_lshrrev_b32_e32 v10, 1, v28
	v_pk_add_f32 v[12:13], v[48:49], v[8:9] op_sel:[0,1] op_sel_hi:[1,0]
	v_pk_add_f32 v[8:9], v[48:49], v[8:9] op_sel:[0,1] op_sel_hi:[1,0] neg_lo:[0,1] neg_hi:[0,1]
	v_mul_lo_u32 v10, v10, 6
	v_mov_b32_e32 v21, v9
	v_lshrrev_b32_e32 v9, 1, v38
	v_or_b32_e32 v10, v10, v47
	v_mul_lo_u32 v9, v9, 6
	v_pk_add_f32 v[22:23], v[22:23], v[76:77]
	v_lshl_add_u32 v14, v10, 3, 0
	v_mov_b32_e32 v20, v12
	v_or_b32_e32 v9, v9, v47
	ds_write2_b64 v14, v[22:23], v[20:21] offset1:2
	v_mov_b32_e32 v75, v15
	v_mov_b32_e32 v89, v43
	v_lshrrev_b32_e32 v10, 1, v34
	v_lshl_add_u32 v20, v9, 3, 0
	v_mov_b32_e32 v9, v13
	v_mov_b32_e32 v73, v17
	v_mul_lo_u32 v10, v10, 6
	ds_write_b64 v14, v[8:9] offset:32
	v_pk_add_f32 v[8:9], v[74:75], v[88:89]
	v_pk_add_f32 v[16:17], v[74:75], v[88:89] neg_lo:[0,1] neg_hi:[0,1]
	v_or_b32_e32 v10, v10, v47
	v_pk_fma_f32 v[8:9], v[8:9], 0.5, v[54:55] op_sel_hi:[1,0,1] neg_lo:[1,0,0] neg_hi:[1,0,0]
	v_pk_mul_f32 v[16:17], v[16:17], s[2:3] op_sel_hi:[1,0]
	v_mov_b32_e32 v87, v19
	v_lshl_add_u32 v21, v10, 3, 0
	v_mov_b32_e32 v81, v11
	v_pk_add_f32 v[10:11], v[54:55], v[74:75]
	v_pk_add_f32 v[18:19], v[8:9], v[16:17] op_sel:[0,1] op_sel_hi:[1,0]
	v_pk_add_f32 v[8:9], v[8:9], v[16:17] op_sel:[0,1] op_sel_hi:[1,0] neg_lo:[0,1] neg_hi:[0,1]
	v_pk_add_f32 v[10:11], v[10:11], v[88:89]
	v_mov_b32_e32 v16, v18
	v_mov_b32_e32 v17, v9
	;; [unrolled: 1-line block ×3, first 2 shown]
	ds_write2_b64 v20, v[10:11], v[16:17] offset1:2
	ds_write_b64 v20, v[8:9] offset:32
	v_pk_add_f32 v[8:9], v[72:73], v[80:81]
	v_pk_add_f32 v[10:11], v[72:73], v[80:81] neg_lo:[0,1] neg_hi:[0,1]
	v_pk_fma_f32 v[8:9], v[8:9], 0.5, v[66:67] op_sel_hi:[1,0,1] neg_lo:[1,0,0] neg_hi:[1,0,0]
	v_pk_mul_f32 v[10:11], v[10:11], s[2:3] op_sel_hi:[1,0]
	v_pk_add_f32 v[14:15], v[66:67], v[72:73]
	v_pk_add_f32 v[16:17], v[8:9], v[10:11] op_sel:[0,1] op_sel_hi:[1,0]
	v_pk_add_f32 v[8:9], v[8:9], v[10:11] op_sel:[0,1] op_sel_hi:[1,0] neg_lo:[0,1] neg_hi:[0,1]
	v_mov_b32_e32 v57, v51
	v_pk_add_f32 v[14:15], v[14:15], v[80:81]
	v_mov_b32_e32 v10, v16
	v_mov_b32_e32 v11, v9
	;; [unrolled: 1-line block ×3, first 2 shown]
	v_lshrrev_b32_e32 v12, 1, v36
	ds_write2_b64 v21, v[14:15], v[10:11] offset1:2
	ds_write_b64 v21, v[8:9] offset:32
	v_pk_add_f32 v[8:9], v[86:87], v[56:57]
	v_pk_add_f32 v[10:11], v[86:87], v[56:57] neg_lo:[0,1] neg_hi:[0,1]
	v_mul_lo_u32 v12, v12, 6
	v_pk_fma_f32 v[8:9], v[8:9], 0.5, v[64:65] op_sel_hi:[1,0,1] neg_lo:[1,0,0] neg_hi:[1,0,0]
	v_pk_mul_f32 v[10:11], v[10:11], s[2:3] op_sel_hi:[1,0]
	v_or_b32_e32 v12, v12, v47
	v_pk_add_f32 v[14:15], v[8:9], v[10:11] op_sel:[0,1] op_sel_hi:[1,0]
	v_pk_add_f32 v[8:9], v[8:9], v[10:11] op_sel:[0,1] op_sel_hi:[1,0] neg_lo:[0,1] neg_hi:[0,1]
	v_lshl_add_u32 v22, v12, 3, 0
	v_mov_b32_e32 v11, v9
	v_mov_b32_e32 v9, v15
	s_mov_b32 s3, 0xaaab
	ds_write_b64 v22, v[8:9] offset:32
	v_mul_u32_u24_sdwa v8, v36, s3 dst_sel:DWORD dst_unused:UNUSED_PAD src0_sel:WORD_0 src1_sel:DWORD
	v_lshrrev_b32_e32 v47, 18, v8
	v_mul_lo_u16_e32 v8, 6, v47
	v_pk_add_f32 v[12:13], v[64:65], v[86:87]
	v_sub_u16_e32 v84, v36, v8
	v_pk_add_f32 v[12:13], v[12:13], v[56:57]
	v_mov_b32_e32 v10, v14
	v_lshlrev_b32_e32 v8, 4, v84
	ds_write2_b64 v22, v[12:13], v[10:11] offset1:2
	s_waitcnt lgkmcnt(0)
	s_barrier
	global_load_dwordx4 v[8:11], v8, s[4:5] offset:32
	v_mul_u32_u24_sdwa v12, v34, s3 dst_sel:DWORD dst_unused:UNUSED_PAD src0_sel:WORD_0 src1_sel:DWORD
	v_lshrrev_b32_e32 v85, 18, v12
	v_mul_lo_u16_e32 v12, 6, v85
	v_sub_u16_e32 v86, v34, v12
	v_lshlrev_b32_e32 v12, 4, v86
	global_load_dwordx4 v[12:15], v12, s[4:5] offset:32
	v_mul_u32_u24_sdwa v16, v35, s3 dst_sel:DWORD dst_unused:UNUSED_PAD src0_sel:WORD_0 src1_sel:DWORD
	v_lshrrev_b32_e32 v87, 18, v16
	v_mul_lo_u16_e32 v16, 6, v87
	v_sub_u16_e32 v88, v35, v16
	v_lshlrev_b32_e32 v16, 4, v88
	global_load_dwordx4 v[16:19], v16, s[4:5] offset:32
	s_movk_i32 s3, 0xab
	v_mul_lo_u16_sdwa v20, v28, s3 dst_sel:DWORD dst_unused:UNUSED_PAD src0_sel:BYTE_0 src1_sel:DWORD
	v_lshrrev_b16_e32 v89, 10, v20
	v_mul_lo_u16_e32 v20, 6, v89
	v_mul_lo_u16_sdwa v42, v24, s3 dst_sel:DWORD dst_unused:UNUSED_PAD src0_sel:BYTE_0 src1_sel:DWORD
	v_sub_u16_e32 v90, v28, v20
	v_lshrrev_b16_e32 v80, 10, v42
	v_lshlrev_b32_sdwa v20, v91, v90 dst_sel:DWORD dst_unused:UNUSED_PAD src0_sel:DWORD src1_sel:BYTE_0
	global_load_dwordx4 v[20:23], v20, s[4:5] offset:32
	v_mul_lo_u16_e32 v42, 6, v80
	v_sub_u16_e32 v81, v24, v42
	v_lshlrev_b32_sdwa v42, v91, v81 dst_sel:DWORD dst_unused:UNUSED_PAD src0_sel:DWORD src1_sel:BYTE_0
	global_load_dwordx4 v[48:51], v42, s[4:5] offset:32
	ds_read2_b64 v[52:55], v7 offset0:112 offset1:238
	ds_read_b64 v[58:59], v60 offset:14112
	s_waitcnt vmcnt(4) lgkmcnt(1)
	v_pk_mul_f32 v[42:43], v[54:55], v[8:9] op_sel:[0,1]
	s_nop 0
	v_pk_fma_f32 v[56:57], v[54:55], v[8:9], v[42:43] op_sel:[0,0,1] op_sel_hi:[1,1,0] neg_lo:[0,0,1] neg_hi:[0,0,1]
	v_pk_fma_f32 v[42:43], v[54:55], v[8:9], v[42:43] op_sel:[0,0,1] op_sel_hi:[1,0,0]
	v_mov_b32_e32 v8, v11
	s_waitcnt lgkmcnt(0)
	v_pk_mul_f32 v[8:9], v[58:59], v[8:9] op_sel_hi:[1,0]
	ds_read_b64 v[54:55], v3
	ds_read_b64 v[64:65], v60 offset:6048
	v_pk_fma_f32 v[66:67], v[58:59], v[10:11], v[8:9] op_sel:[0,0,1] op_sel_hi:[1,1,0] neg_lo:[0,0,1] neg_hi:[0,0,1]
	v_pk_fma_f32 v[58:59], v[58:59], v[10:11], v[8:9] op_sel:[0,0,1] op_sel_hi:[1,0,0]
	ds_read2_b64 v[8:11], v5 offset0:104 offset1:230
	s_waitcnt vmcnt(3)
	v_pk_mul_f32 v[68:69], v[52:53], v[12:13] op_sel:[0,1]
	v_mov_b32_e32 v57, v43
	v_pk_fma_f32 v[70:71], v[52:53], v[12:13], v[68:69] op_sel:[0,0,1] op_sel_hi:[1,1,0] neg_lo:[0,0,1] neg_hi:[0,0,1]
	v_pk_fma_f32 v[12:13], v[52:53], v[12:13], v[68:69] op_sel:[0,0,1] op_sel_hi:[1,0,0]
	v_mov_b32_e32 v67, v59
	v_mov_b32_e32 v12, v15
	s_waitcnt lgkmcnt(0)
	v_pk_mul_f32 v[52:53], v[10:11], v[12:13] op_sel_hi:[1,0]
	s_waitcnt vmcnt(2)
	v_mov_b32_e32 v12, v19
	v_pk_fma_f32 v[68:69], v[10:11], v[14:15], v[52:53] op_sel:[0,0,1] op_sel_hi:[1,1,0] neg_lo:[0,0,1] neg_hi:[0,0,1]
	v_pk_fma_f32 v[14:15], v[10:11], v[14:15], v[52:53] op_sel:[0,0,1] op_sel_hi:[1,0,0]
	ds_read2_b32 v[10:11], v92 offset0:228 offset1:229
	v_pk_mul_f32 v[52:53], v[8:9], v[12:13] op_sel_hi:[1,0]
	s_waitcnt vmcnt(1)
	v_pk_mul_f32 v[76:77], v[20:21], v[64:65] op_sel:[0,1]
	v_pk_fma_f32 v[72:73], v[8:9], v[18:19], v[52:53] op_sel:[0,0,1] op_sel_hi:[1,1,0] neg_lo:[0,0,1] neg_hi:[0,0,1]
	v_pk_fma_f32 v[18:19], v[8:9], v[18:19], v[52:53] op_sel:[0,0,1] op_sel_hi:[1,0,0]
	s_waitcnt lgkmcnt(0)
	v_mov_b32_e32 v8, v11
	v_pk_mul_f32 v[8:9], v[8:9], v[16:17] op_sel_hi:[0,1]
	v_pk_fma_f32 v[52:53], v[16:17], v[10:11], v[8:9] op_sel:[0,0,1] op_sel_hi:[1,1,0] neg_lo:[0,0,1] neg_hi:[0,0,1]
	v_pk_fma_f32 v[16:17], v[16:17], v[10:11], v[8:9] op_sel:[0,0,1] op_sel_hi:[1,0,0]
	ds_read2_b64 v[8:11], v6 offset0:108 offset1:234
	ds_read_b64 v[74:75], v60
	v_pk_fma_f32 v[78:79], v[20:21], v[64:65], v[76:77] op_sel:[0,0,1] op_sel_hi:[1,1,0] neg_lo:[0,0,1] neg_hi:[0,0,1]
	v_pk_fma_f32 v[20:21], v[20:21], v[64:65], v[76:77] op_sel:[0,0,1] op_sel_hi:[1,0,0]
	v_mov_b32_e32 v53, v17
	s_waitcnt lgkmcnt(1)
	v_pk_mul_f32 v[64:65], v[22:23], v[10:11] op_sel:[0,1]
	v_mov_b32_e32 v79, v21
	v_pk_fma_f32 v[76:77], v[22:23], v[10:11], v[64:65] op_sel:[0,0,1] op_sel_hi:[1,1,0] neg_lo:[0,0,1] neg_hi:[0,0,1]
	v_pk_fma_f32 v[10:11], v[22:23], v[10:11], v[64:65] op_sel:[0,0,1] op_sel_hi:[1,0,0]
	s_waitcnt vmcnt(0)
	v_pk_mul_f32 v[22:23], v[50:51], v[8:9] op_sel:[0,1]
	v_mul_u32_u24_e32 v10, 0x90, v80
	v_pk_fma_f32 v[64:65], v[50:51], v[8:9], v[22:23] op_sel:[0,0,1] op_sel_hi:[1,1,0] neg_lo:[0,0,1] neg_hi:[0,0,1]
	v_pk_fma_f32 v[8:9], v[50:51], v[8:9], v[22:23] op_sel:[0,0,1] op_sel_hi:[1,0,0]
	v_pk_mul_f32 v[22:23], v[48:49], v[54:55] op_sel:[0,1]
	v_mov_b32_e32 v65, v9
	v_pk_fma_f32 v[50:51], v[48:49], v[54:55], v[22:23] op_sel:[0,0,1] op_sel_hi:[1,1,0] neg_lo:[0,0,1] neg_hi:[0,0,1]
	v_pk_fma_f32 v[22:23], v[48:49], v[54:55], v[22:23] op_sel:[0,0,1] op_sel_hi:[1,0,0]
	v_mov_b32_e32 v77, v11
	v_mov_b32_e32 v51, v23
	v_pk_add_f32 v[8:9], v[50:51], v[64:65]
	s_waitcnt lgkmcnt(0)
	v_pk_add_f32 v[22:23], v[74:75], v[50:51]
	v_pk_add_f32 v[48:49], v[50:51], v[64:65] neg_lo:[0,1] neg_hi:[0,1]
	v_pk_fma_f32 v[8:9], v[8:9], 0.5, v[74:75] op_sel_hi:[1,0,1] neg_lo:[1,0,0] neg_hi:[1,0,0]
	v_pk_add_f32 v[22:23], v[22:23], v[64:65]
	v_pk_mul_f32 v[48:49], v[48:49], s[2:3] op_sel_hi:[1,0]
	v_mov_b32_e32 v64, 3
	v_pk_add_f32 v[50:51], v[8:9], v[48:49] op_sel:[0,1] op_sel_hi:[1,0]
	v_pk_add_f32 v[8:9], v[8:9], v[48:49] op_sel:[0,1] op_sel_hi:[1,0] neg_lo:[0,1] neg_hi:[0,1]
	v_lshlrev_b32_sdwa v12, v64, v81 dst_sel:DWORD dst_unused:UNUSED_PAD src0_sel:DWORD src1_sel:BYTE_0
	ds_read_b64 v[48:49], v2
	ds_read_b64 v[54:55], v1
	;; [unrolled: 1-line block ×4, first 2 shown]
	v_add3_u32 v10, 0, v10, v12
	v_mov_b32_e32 v83, v9
	v_mov_b32_e32 v9, v51
	s_waitcnt lgkmcnt(0)
	s_barrier
	ds_write_b64 v10, v[8:9] offset:96
	v_pk_add_f32 v[8:9], v[78:79], v[76:77]
	v_pk_add_f32 v[20:21], v[78:79], v[76:77] neg_lo:[0,1] neg_hi:[0,1]
	v_mov_b32_e32 v82, v50
	v_pk_fma_f32 v[8:9], v[8:9], 0.5, v[80:81] op_sel_hi:[1,0,1] neg_lo:[1,0,0] neg_hi:[1,0,0]
	v_pk_mul_f32 v[20:21], v[20:21], s[2:3] op_sel_hi:[1,0]
	ds_write2_b64 v10, v[22:23], v[82:83] offset1:6
	v_pk_add_f32 v[22:23], v[8:9], v[20:21] op_sel:[0,1] op_sel_hi:[1,0]
	v_pk_add_f32 v[8:9], v[8:9], v[20:21] op_sel:[0,1] op_sel_hi:[1,0] neg_lo:[0,1] neg_hi:[0,1]
	v_mul_u32_u24_e32 v12, 0x90, v89
	v_lshlrev_b32_sdwa v14, v64, v90 dst_sel:DWORD dst_unused:UNUSED_PAD src0_sel:DWORD src1_sel:BYTE_0
	v_add3_u32 v12, 0, v12, v14
	v_mov_b32_e32 v21, v9
	v_mov_b32_e32 v9, v23
	s_mov_b32 s3, 0x5040100
	v_pk_add_f32 v[10:11], v[80:81], v[78:79]
	ds_write_b64 v12, v[8:9] offset:96
	v_perm_b32 v8, v87, v85, s3
	s_movk_i32 s3, 0x90
	v_pk_add_f32 v[10:11], v[10:11], v[76:77]
	v_mov_b32_e32 v20, v22
	v_pk_mul_lo_u16 v8, v8, s3 op_sel_hi:[1,0]
	ds_write2_b64 v12, v[10:11], v[20:21] offset1:6
	v_lshlrev_b32_e32 v9, 3, v88
	v_lshrrev_b32_e32 v10, 16, v8
	v_mov_b32_e32 v73, v19
	v_mov_b32_e32 v69, v15
	v_add3_u32 v18, 0, v10, v9
	v_pk_add_f32 v[10:11], v[52:53], v[72:73]
	v_pk_add_f32 v[14:15], v[52:53], v[72:73] neg_lo:[0,1] neg_hi:[0,1]
	v_pk_fma_f32 v[10:11], v[10:11], 0.5, v[74:75] op_sel_hi:[1,0,1] neg_lo:[1,0,0] neg_hi:[1,0,0]
	v_pk_mul_f32 v[14:15], v[14:15], s[2:3] op_sel_hi:[1,0]
	v_mov_b32_e32 v71, v13
	v_pk_add_f32 v[12:13], v[74:75], v[52:53]
	v_pk_add_f32 v[16:17], v[10:11], v[14:15] op_sel:[0,1] op_sel_hi:[1,0]
	v_pk_add_f32 v[10:11], v[10:11], v[14:15] op_sel:[0,1] op_sel_hi:[1,0] neg_lo:[0,1] neg_hi:[0,1]
	v_pk_add_f32 v[12:13], v[12:13], v[72:73]
	v_mov_b32_e32 v14, v16
	v_mov_b32_e32 v15, v11
	;; [unrolled: 1-line block ×3, first 2 shown]
	ds_write2_b64 v18, v[12:13], v[14:15] offset1:6
	ds_write_b64 v18, v[10:11] offset:96
	v_pk_add_f32 v[10:11], v[70:71], v[68:69]
	v_pk_add_f32 v[14:15], v[70:71], v[68:69] neg_lo:[0,1] neg_hi:[0,1]
	v_pk_fma_f32 v[10:11], v[10:11], 0.5, v[54:55] op_sel_hi:[1,0,1] neg_lo:[1,0,0] neg_hi:[1,0,0]
	v_pk_mul_f32 v[14:15], v[14:15], s[2:3] op_sel_hi:[1,0]
	v_and_b32_e32 v8, 0xfff0, v8
	v_lshlrev_b32_e32 v9, 3, v86
	v_pk_add_f32 v[12:13], v[54:55], v[70:71]
	v_pk_add_f32 v[16:17], v[10:11], v[14:15] op_sel:[0,1] op_sel_hi:[1,0]
	v_pk_add_f32 v[10:11], v[10:11], v[14:15] op_sel:[0,1] op_sel_hi:[1,0] neg_lo:[0,1] neg_hi:[0,1]
	v_add3_u32 v20, 0, v8, v9
	v_pk_add_f32 v[12:13], v[12:13], v[68:69]
	v_mov_b32_e32 v14, v16
	v_mov_b32_e32 v15, v11
	;; [unrolled: 1-line block ×3, first 2 shown]
	ds_write2_b64 v20, v[12:13], v[14:15] offset1:6
	ds_write_b64 v20, v[10:11] offset:96
	v_pk_add_f32 v[10:11], v[56:57], v[66:67]
	v_pk_add_f32 v[12:13], v[56:57], v[66:67] neg_lo:[0,1] neg_hi:[0,1]
	v_mul_u32_u24_e32 v8, 0x90, v47
	v_lshlrev_b32_e32 v9, 3, v84
	v_pk_fma_f32 v[10:11], v[10:11], 0.5, v[48:49] op_sel_hi:[1,0,1] neg_lo:[1,0,0] neg_hi:[1,0,0]
	v_pk_mul_f32 v[12:13], v[12:13], s[2:3] op_sel_hi:[1,0]
	v_add3_u32 v21, 0, v8, v9
	v_pk_add_f32 v[8:9], v[48:49], v[56:57]
	v_pk_add_f32 v[14:15], v[10:11], v[12:13] op_sel:[0,1] op_sel_hi:[1,0]
	v_pk_add_f32 v[10:11], v[10:11], v[12:13] op_sel:[0,1] op_sel_hi:[1,0] neg_lo:[0,1] neg_hi:[0,1]
	v_pk_add_f32 v[8:9], v[8:9], v[66:67]
	v_mov_b32_e32 v12, v14
	v_mov_b32_e32 v13, v11
	s_mov_b32 s3, 0xe38f
	ds_write2_b64 v21, v[8:9], v[12:13] offset1:6
	v_mul_u32_u24_sdwa v8, v36, s3 dst_sel:DWORD dst_unused:UNUSED_PAD src0_sel:WORD_0 src1_sel:DWORD
	v_lshrrev_b32_e32 v47, 20, v8
	v_mul_lo_u16_e32 v8, 18, v47
	v_sub_u16_e32 v65, v36, v8
	v_mov_b32_e32 v11, v15
	v_lshlrev_b32_e32 v8, 4, v65
	ds_write_b64 v21, v[10:11] offset:96
	s_waitcnt lgkmcnt(0)
	s_barrier
	global_load_dwordx4 v[8:11], v8, s[4:5] offset:128
	v_mul_u32_u24_sdwa v12, v34, s3 dst_sel:DWORD dst_unused:UNUSED_PAD src0_sel:WORD_0 src1_sel:DWORD
	v_lshrrev_b32_e32 v80, 20, v12
	v_mul_lo_u16_e32 v12, 18, v80
	v_sub_u16_e32 v81, v34, v12
	v_lshlrev_b32_e32 v12, 4, v81
	global_load_dwordx4 v[12:15], v12, s[4:5] offset:128
	v_mul_u32_u24_sdwa v16, v35, s3 dst_sel:DWORD dst_unused:UNUSED_PAD src0_sel:WORD_0 src1_sel:DWORD
	v_lshrrev_b32_e32 v82, 20, v16
	v_mul_lo_u16_e32 v16, 18, v82
	v_sub_u16_e32 v83, v35, v16
	v_lshlrev_b32_e32 v16, 4, v83
	global_load_dwordx4 v[16:19], v16, s[4:5] offset:128
	v_mov_b32_e32 v42, 57
	v_mul_lo_u16_sdwa v20, v28, v42 dst_sel:DWORD dst_unused:UNUSED_PAD src0_sel:BYTE_0 src1_sel:DWORD
	v_lshrrev_b16_e32 v84, 10, v20
	v_mul_lo_u16_e32 v20, 18, v84
	v_mul_lo_u16_sdwa v42, v24, v42 dst_sel:DWORD dst_unused:UNUSED_PAD src0_sel:BYTE_0 src1_sel:DWORD
	v_sub_u16_e32 v85, v28, v20
	v_lshrrev_b16_e32 v86, 10, v42
	v_lshlrev_b32_sdwa v20, v91, v85 dst_sel:DWORD dst_unused:UNUSED_PAD src0_sel:DWORD src1_sel:BYTE_0
	global_load_dwordx4 v[20:23], v20, s[4:5] offset:128
	v_mul_lo_u16_e32 v42, 18, v86
	v_sub_u16_e32 v87, v24, v42
	v_lshlrev_b32_sdwa v42, v91, v87 dst_sel:DWORD dst_unused:UNUSED_PAD src0_sel:DWORD src1_sel:BYTE_0
	global_load_dwordx4 v[48:51], v42, s[4:5] offset:128
	ds_read2_b64 v[52:55], v7 offset0:112 offset1:238
	ds_read_b64 v[58:59], v60 offset:14112
	s_waitcnt vmcnt(4) lgkmcnt(1)
	v_pk_mul_f32 v[42:43], v[54:55], v[8:9] op_sel:[0,1]
	s_nop 0
	v_pk_fma_f32 v[56:57], v[54:55], v[8:9], v[42:43] op_sel:[0,0,1] op_sel_hi:[1,1,0] neg_lo:[0,0,1] neg_hi:[0,0,1]
	v_pk_fma_f32 v[42:43], v[54:55], v[8:9], v[42:43] op_sel:[0,0,1] op_sel_hi:[1,0,0]
	v_mov_b32_e32 v8, v11
	s_waitcnt lgkmcnt(0)
	v_pk_mul_f32 v[8:9], v[58:59], v[8:9] op_sel_hi:[1,0]
	ds_read_b64 v[54:55], v3
	ds_read_b64 v[66:67], v60 offset:6048
	v_pk_fma_f32 v[68:69], v[58:59], v[10:11], v[8:9] op_sel:[0,0,1] op_sel_hi:[1,1,0] neg_lo:[0,0,1] neg_hi:[0,0,1]
	v_pk_fma_f32 v[58:59], v[58:59], v[10:11], v[8:9] op_sel:[0,0,1] op_sel_hi:[1,0,0]
	ds_read2_b64 v[8:11], v5 offset0:104 offset1:230
	s_waitcnt vmcnt(3)
	v_pk_mul_f32 v[70:71], v[52:53], v[12:13] op_sel:[0,1]
	v_mul_u32_u24_e32 v3, 0x1b0, v86
	v_pk_fma_f32 v[72:73], v[52:53], v[12:13], v[70:71] op_sel:[0,0,1] op_sel_hi:[1,1,0] neg_lo:[0,0,1] neg_hi:[0,0,1]
	v_pk_fma_f32 v[12:13], v[52:53], v[12:13], v[70:71] op_sel:[0,0,1] op_sel_hi:[1,0,0]
	v_lshlrev_b32_sdwa v5, v64, v87 dst_sel:DWORD dst_unused:UNUSED_PAD src0_sel:DWORD src1_sel:BYTE_0
	v_mov_b32_e32 v12, v15
	s_waitcnt lgkmcnt(0)
	v_pk_mul_f32 v[52:53], v[10:11], v[12:13] op_sel_hi:[1,0]
	v_add3_u32 v5, 0, v3, v5
	v_pk_fma_f32 v[70:71], v[10:11], v[14:15], v[52:53] op_sel:[0,0,1] op_sel_hi:[1,1,0] neg_lo:[0,0,1] neg_hi:[0,0,1]
	v_pk_fma_f32 v[10:11], v[10:11], v[14:15], v[52:53] op_sel:[0,0,1] op_sel_hi:[1,0,0]
	ds_read2_b32 v[14:15], v92 offset0:228 offset1:229
	s_waitcnt vmcnt(2)
	v_mov_b32_e32 v10, v19
	v_pk_mul_f32 v[52:53], v[8:9], v[10:11] op_sel_hi:[1,0]
	s_waitcnt vmcnt(1)
	v_pk_mul_f32 v[76:77], v[20:21], v[66:67] op_sel:[0,1]
	v_pk_fma_f32 v[74:75], v[8:9], v[18:19], v[52:53] op_sel:[0,0,1] op_sel_hi:[1,1,0] neg_lo:[0,0,1] neg_hi:[0,0,1]
	v_pk_fma_f32 v[18:19], v[8:9], v[18:19], v[52:53] op_sel:[0,0,1] op_sel_hi:[1,0,0]
	s_waitcnt lgkmcnt(0)
	v_mov_b32_e32 v8, v15
	v_pk_mul_f32 v[8:9], v[8:9], v[16:17] op_sel_hi:[0,1]
	v_pk_fma_f32 v[52:53], v[16:17], v[14:15], v[8:9] op_sel:[0,0,1] op_sel_hi:[1,1,0] neg_lo:[0,0,1] neg_hi:[0,0,1]
	v_pk_fma_f32 v[14:15], v[16:17], v[14:15], v[8:9] op_sel:[0,0,1] op_sel_hi:[1,0,0]
	ds_read2_b64 v[6:9], v6 offset0:108 offset1:234
	ds_read_b64 v[16:17], v60
	v_pk_fma_f32 v[78:79], v[20:21], v[66:67], v[76:77] op_sel:[0,0,1] op_sel_hi:[1,1,0] neg_lo:[0,0,1] neg_hi:[0,0,1]
	v_pk_fma_f32 v[20:21], v[20:21], v[66:67], v[76:77] op_sel:[0,0,1] op_sel_hi:[1,0,0]
	v_lshlrev_b32_sdwa v10, v64, v85 dst_sel:DWORD dst_unused:UNUSED_PAD src0_sel:DWORD src1_sel:BYTE_0
	s_waitcnt lgkmcnt(1)
	v_pk_mul_f32 v[66:67], v[22:23], v[8:9] op_sel:[0,1]
	v_mov_b32_e32 v79, v21
	v_pk_fma_f32 v[76:77], v[22:23], v[8:9], v[66:67] op_sel:[0,0,1] op_sel_hi:[1,1,0] neg_lo:[0,0,1] neg_hi:[0,0,1]
	v_pk_fma_f32 v[8:9], v[22:23], v[8:9], v[66:67] op_sel:[0,0,1] op_sel_hi:[1,0,0]
	s_waitcnt vmcnt(0)
	v_pk_mul_f32 v[22:23], v[50:51], v[6:7] op_sel:[0,1]
	v_mov_b32_e32 v77, v9
	v_pk_fma_f32 v[66:67], v[50:51], v[6:7], v[22:23] op_sel:[0,0,1] op_sel_hi:[1,1,0] neg_lo:[0,0,1] neg_hi:[0,0,1]
	v_pk_fma_f32 v[6:7], v[50:51], v[6:7], v[22:23] op_sel:[0,0,1] op_sel_hi:[1,0,0]
	v_pk_mul_f32 v[22:23], v[48:49], v[54:55] op_sel:[0,1]
	v_mov_b32_e32 v67, v7
	v_pk_fma_f32 v[50:51], v[48:49], v[54:55], v[22:23] op_sel:[0,0,1] op_sel_hi:[1,1,0] neg_lo:[0,0,1] neg_hi:[0,0,1]
	v_pk_fma_f32 v[22:23], v[48:49], v[54:55], v[22:23] op_sel:[0,0,1] op_sel_hi:[1,0,0]
	v_mov_b32_e32 v57, v43
	v_mov_b32_e32 v51, v23
	v_pk_add_f32 v[6:7], v[50:51], v[66:67]
	v_pk_add_f32 v[22:23], v[50:51], v[66:67] neg_lo:[0,1] neg_hi:[0,1]
	s_waitcnt lgkmcnt(0)
	v_pk_fma_f32 v[6:7], v[6:7], 0.5, v[16:17] op_sel_hi:[1,0,1] neg_lo:[1,0,0] neg_hi:[1,0,0]
	v_pk_mul_f32 v[22:23], v[22:23], s[2:3] op_sel_hi:[1,0]
	v_pk_add_f32 v[16:17], v[16:17], v[50:51]
	v_pk_add_f32 v[48:49], v[6:7], v[22:23] op_sel:[0,1] op_sel_hi:[1,0]
	v_pk_add_f32 v[6:7], v[6:7], v[22:23] op_sel:[0,1] op_sel_hi:[1,0] neg_lo:[0,1] neg_hi:[0,1]
	ds_read_b64 v[2:3], v2
	ds_read_b64 v[22:23], v1
	;; [unrolled: 1-line block ×4, first 2 shown]
	v_pk_add_f32 v[16:17], v[16:17], v[66:67]
	v_mov_b32_e32 v54, v48
	v_mov_b32_e32 v55, v7
	;; [unrolled: 1-line block ×3, first 2 shown]
	s_waitcnt lgkmcnt(0)
	s_barrier
	ds_write2_b64 v5, v[16:17], v[54:55] offset1:18
	ds_write_b64 v5, v[6:7] offset:288
	v_pk_add_f32 v[6:7], v[78:79], v[76:77]
	v_pk_add_f32 v[16:17], v[78:79], v[76:77] neg_lo:[0,1] neg_hi:[0,1]
	v_pk_fma_f32 v[6:7], v[6:7], 0.5, v[50:51] op_sel_hi:[1,0,1] neg_lo:[1,0,0] neg_hi:[1,0,0]
	v_pk_mul_f32 v[16:17], v[16:17], s[2:3] op_sel_hi:[1,0]
	v_pk_add_f32 v[8:9], v[50:51], v[78:79]
	v_pk_add_f32 v[20:21], v[6:7], v[16:17] op_sel:[0,1] op_sel_hi:[1,0]
	v_pk_add_f32 v[6:7], v[6:7], v[16:17] op_sel:[0,1] op_sel_hi:[1,0] neg_lo:[0,1] neg_hi:[0,1]
	v_mul_u32_u24_e32 v5, 0x1b0, v84
	v_pk_add_f32 v[8:9], v[8:9], v[76:77]
	v_add3_u32 v5, 0, v5, v10
	v_mov_b32_e32 v16, v20
	v_mov_b32_e32 v17, v7
	;; [unrolled: 1-line block ×3, first 2 shown]
	ds_write2_b64 v5, v[8:9], v[16:17] offset1:18
	v_pk_add_f32 v[8:9], v[56:57], v[68:69]
	v_pk_add_f32 v[16:17], v[56:57], v[68:69] neg_lo:[0,1] neg_hi:[0,1]
	v_pk_fma_f32 v[8:9], v[8:9], 0.5, v[2:3] op_sel_hi:[1,0,1] neg_lo:[1,0,0] neg_hi:[1,0,0]
	v_pk_mul_f32 v[16:17], v[16:17], s[2:3] op_sel_hi:[1,0]
	v_mul_u32_u24_e32 v7, 0x1b0, v82
	v_pk_add_f32 v[42:43], v[8:9], v[16:17] op_sel:[0,1] op_sel_hi:[1,0] neg_lo:[0,1] neg_hi:[0,1]
	v_pk_add_f32 v[54:55], v[8:9], v[16:17] op_sel:[0,1] op_sel_hi:[1,0]
	v_lshlrev_b32_e32 v8, 3, v83
	v_add3_u32 v14, 0, v7, v8
	v_mul_u32_u24_e32 v7, 0x1b0, v80
	v_lshlrev_b32_e32 v8, 3, v81
	v_mov_b32_e32 v53, v15
	v_add3_u32 v15, 0, v7, v8
	v_mov_b32_e32 v75, v19
	v_mov_b32_e32 v7, v21
	ds_write_b64 v5, v[6:7] offset:288
	v_pk_add_f32 v[6:7], v[52:53], v[74:75]
	v_mov_b32_e32 v71, v11
	v_pk_add_f32 v[10:11], v[0:1], v[52:53]
	v_pk_fma_f32 v[0:1], v[6:7], 0.5, v[0:1] op_sel_hi:[1,0,1] neg_lo:[1,0,0] neg_hi:[1,0,0]
	v_pk_add_f32 v[6:7], v[52:53], v[74:75] neg_lo:[0,1] neg_hi:[0,1]
	v_mov_b32_e32 v73, v13
	v_pk_mul_f32 v[6:7], v[6:7], s[2:3] op_sel_hi:[1,0]
	v_pk_add_f32 v[10:11], v[10:11], v[74:75]
	v_pk_add_f32 v[12:13], v[0:1], v[6:7] op_sel:[0,1] op_sel_hi:[1,0]
	v_pk_add_f32 v[0:1], v[0:1], v[6:7] op_sel:[0,1] op_sel_hi:[1,0] neg_lo:[0,1] neg_hi:[0,1]
	v_mov_b32_e32 v6, v12
	v_mov_b32_e32 v7, v1
	;; [unrolled: 1-line block ×3, first 2 shown]
	ds_write2_b64 v14, v[10:11], v[6:7] offset1:18
	ds_write_b64 v14, v[0:1] offset:288
	v_pk_add_f32 v[0:1], v[72:73], v[70:71]
	v_pk_add_f32 v[6:7], v[72:73], v[70:71] neg_lo:[0,1] neg_hi:[0,1]
	v_pk_fma_f32 v[0:1], v[0:1], 0.5, v[22:23] op_sel_hi:[1,0,1] neg_lo:[1,0,0] neg_hi:[1,0,0]
	v_pk_mul_f32 v[6:7], v[6:7], s[2:3] op_sel_hi:[1,0]
	v_pk_add_f32 v[8:9], v[22:23], v[72:73]
	v_pk_add_f32 v[10:11], v[0:1], v[6:7] op_sel:[0,1] op_sel_hi:[1,0]
	v_pk_add_f32 v[0:1], v[0:1], v[6:7] op_sel:[0,1] op_sel_hi:[1,0] neg_lo:[0,1] neg_hi:[0,1]
	v_pk_add_f32 v[8:9], v[8:9], v[70:71]
	v_mov_b32_e32 v7, v1
	v_mov_b32_e32 v1, v11
	ds_write_b64 v15, v[0:1] offset:288
	v_mul_u32_u24_e32 v0, 0x1b0, v47
	v_lshlrev_b32_e32 v1, 3, v65
	v_add3_u32 v5, 0, v0, v1
	v_pk_add_f32 v[0:1], v[2:3], v[56:57]
	v_mov_b32_e32 v6, v10
	v_pk_add_f32 v[0:1], v[0:1], v[68:69]
	v_mov_b32_e32 v2, v54
	v_mov_b32_e32 v3, v43
	;; [unrolled: 1-line block ×3, first 2 shown]
	ds_write2_b64 v15, v[8:9], v[6:7] offset1:18
	ds_write2_b64 v5, v[0:1], v[2:3] offset1:18
	ds_write_b64 v5, v[42:43] offset:288
	v_add_u32_e32 v0, 0x800, v60
	v_add_u32_e32 v5, 0x1000, v60
	s_waitcnt lgkmcnt(0)
	s_barrier
	ds_read2_b64 v[0:3], v0 offset0:14 offset1:140
	ds_read2_b64 v[16:19], v5 offset0:28 offset1:154
	ds_read2_b64 v[8:11], v92 offset0:42 offset1:168
	v_add_u32_e32 v5, 0x2000, v60
	ds_read2_b64 v[20:23], v5 offset0:56 offset1:182
	v_add_u32_e32 v5, 0x2800, v60
	ds_read2_b64 v[12:15], v5 offset0:70 offset1:196
	ds_read_b64 v[58:59], v60
	ds_read_b64 v[56:57], v46
	ds_read2_b64 v[4:7], v4 offset0:84 offset1:210
	v_sub_u32_e32 v43, 0, v45
	v_cmp_gt_u32_e64 s[2:3], 18, v24
	v_add_u32_e32 v54, v44, v43
                                        ; implicit-def: $vgpr45
                                        ; implicit-def: $vgpr46
                                        ; implicit-def: $vgpr49
                                        ; implicit-def: $vgpr50
                                        ; implicit-def: $vgpr52
	s_and_saveexec_b64 s[6:7], s[2:3]
	s_cbranch_execz .LBB0_17
; %bb.16:
	ds_read_b64 v[40:41], v60 offset:4176
	ds_read_b64 v[44:45], v60 offset:6336
	;; [unrolled: 1-line block ×5, first 2 shown]
	ds_read_b64 v[42:43], v54
	ds_read_b64 v[52:53], v60 offset:14976
	s_waitcnt lgkmcnt(1)
	v_mov_b32_e32 v55, v43
.LBB0_17:
	s_or_b64 exec, exec, s[6:7]
	v_mov_b32_e32 v43, 19
	v_mul_lo_u16_sdwa v66, v28, v43 dst_sel:DWORD dst_unused:UNUSED_PAD src0_sel:BYTE_0 src1_sel:DWORD
	v_lshrrev_b16_e32 v93, 10, v66
	v_mul_lo_u16_sdwa v43, v24, v43 dst_sel:DWORD dst_unused:UNUSED_PAD src0_sel:BYTE_0 src1_sel:DWORD
	v_mul_lo_u16_e32 v66, 54, v93
	v_lshrrev_b16_e32 v43, 10, v43
	v_mov_b32_e32 v65, 6
	v_sub_u16_e32 v104, v28, v66
	v_mul_lo_u16_e32 v74, 54, v43
	v_mul_u32_u24_sdwa v66, v104, v65 dst_sel:DWORD dst_unused:UNUSED_PAD src0_sel:BYTE_0 src1_sel:DWORD
	v_sub_u16_e32 v105, v24, v74
	v_lshlrev_b32_e32 v90, 3, v66
	v_mul_u32_u24_sdwa v65, v105, v65 dst_sel:DWORD dst_unused:UNUSED_PAD src0_sel:BYTE_0 src1_sel:DWORD
	global_load_dwordx4 v[66:69], v90, s[4:5] offset:416
	global_load_dwordx4 v[70:73], v90, s[4:5] offset:432
	v_lshlrev_b32_e32 v65, 3, v65
	global_load_dwordx4 v[74:77], v65, s[4:5] offset:416
	global_load_dwordx4 v[78:81], v65, s[4:5] offset:432
	;; [unrolled: 1-line block ×4, first 2 shown]
	v_mul_u32_u24_e32 v65, 0xbd0, v93
	v_lshlrev_b32_sdwa v93, v64, v105 dst_sel:DWORD dst_unused:UNUSED_PAD src0_sel:DWORD src1_sel:BYTE_0
	v_lshlrev_b32_sdwa v64, v64, v104 dst_sel:DWORD dst_unused:UNUSED_PAD src0_sel:DWORD src1_sel:BYTE_0
	v_mul_u32_u24_e32 v43, 0xbd0, v43
	v_add3_u32 v116, 0, v65, v64
	s_waitcnt lgkmcnt(7)
	v_mov_b32_e32 v92, v3
	s_waitcnt lgkmcnt(5)
	v_mov_b32_e32 v97, v10
	v_mov_b32_e32 v100, v17
	s_waitcnt lgkmcnt(4)
	v_mov_b32_e32 v101, v20
	v_mov_b32_e32 v103, v21
	v_add3_u32 v43, 0, v43, v93
	s_waitcnt lgkmcnt(3)
	v_mov_b32_e32 v96, v15
	v_mov_b32_e32 v95, v22
	;; [unrolled: 1-line block ×8, first 2 shown]
	s_mov_b32 s8, 0x3eae86e6
	s_mov_b32 s9, 0xbf08b237
	;; [unrolled: 1-line block ×10, first 2 shown]
	s_waitcnt lgkmcnt(0)
	s_barrier
	s_mov_b32 s12, 0x3f5ff5aa
	s_mov_b32 s14, 0x3f3bfb3b
	v_sub_u32_e32 v39, 0, v39
	v_sub_u32_e32 v63, 0, v63
	s_waitcnt vmcnt(3)
	v_mul_f32_e32 v104, v77, v17
	v_pk_mul_f32 v[64:65], v[68:69], v[18:19]
	v_pk_mul_f32 v[106:107], v[66:67], v[2:3] op_sel_hi:[1,0]
	v_mul_f32_e32 v93, v23, v72
	v_mul_f32_e32 v117, v10, v71
	s_waitcnt vmcnt(2)
	v_mul_f32_e32 v17, v80, v21
	v_mul_f32_e32 v21, v81, v20
	s_waitcnt vmcnt(1)
	v_pk_mul_f32 v[110:111], v[6:7], v[84:85] op_sel_hi:[1,0]
	v_mov_b32_e32 v10, v85
	v_mov_b32_e32 v20, v85
	v_pk_mul_f32 v[84:85], v[14:15], v[82:83]
	v_mov_b32_e32 v64, v65
	v_pk_fma_f32 v[2:3], v[66:67], v[2:3], v[106:107] op_sel:[0,1,1] op_sel_hi:[1,1,0] neg_lo:[1,0,0] neg_hi:[1,0,0]
	v_pk_fma_f32 v[114:115], v[66:67], v[92:93], v[106:107] op_sel:[0,0,1] op_sel_hi:[1,1,0]
	v_mov_b32_e32 v2, v85
	v_pk_fma_f32 v[64:65], v[68:69], v[18:19], v[64:65] neg_lo:[0,0,1] neg_hi:[0,0,1]
	v_mov_b32_e32 v113, v70
	v_mov_b32_e32 v115, v3
	;; [unrolled: 1-line block ×3, first 2 shown]
	v_pk_fma_f32 v[2:3], v[14:15], v[82:83], v[2:3] neg_lo:[0,0,1] neg_hi:[0,0,1]
	v_mov_b32_e32 v15, v11
	v_mul_f32_e32 v65, v11, v70
	v_mov_b32_e32 v70, v83
	v_mul_f32_e32 v105, v22, v73
	v_mov_b32_e32 v109, v72
	v_mov_b32_e32 v72, v69
	;; [unrolled: 1-line block ×4, first 2 shown]
	v_pk_mul_f32 v[14:15], v[14:15], v[70:71]
	s_waitcnt vmcnt(0)
	v_mul_f32_e32 v84, v87, v13
	v_pk_mul_f32 v[22:23], v[72:73], v[22:23]
	v_pk_fma_f32 v[72:73], v[96:97], v[82:83], v[14:15]
	v_pk_fma_f32 v[14:15], v[96:97], v[112:113], v[14:15] neg_lo:[0,0,1] neg_hi:[0,0,1]
	v_fma_f32 v12, v86, v12, -v84
	v_mov_b32_e32 v14, v1
	v_pk_mul_f32 v[84:85], v[74:75], v[0:1] op_sel_hi:[1,0]
	v_mul_f32_e32 v13, v79, v8
	v_pk_fma_f32 v[0:1], v[74:75], v[0:1], v[84:85] op_sel:[0,1,1] op_sel_hi:[1,1,0] neg_lo:[1,0,0] neg_hi:[1,0,0]
	v_pk_fma_f32 v[74:75], v[74:75], v[14:15], v[84:85] op_sel:[0,0,1] op_sel_hi:[1,1,0]
	v_mov_b32_e32 v85, v80
	v_mov_b32_e32 v80, v77
	;; [unrolled: 1-line block ×3, first 2 shown]
	v_pk_mul_f32 v[80:81], v[80:81], v[102:103]
	v_mul_f32_e32 v9, v78, v9
	v_fma_f32 v8, v76, v16, -v104
	v_pk_fma_f32 v[76:77], v[76:77], v[100:101], v[80:81]
	v_pk_fma_f32 v[80:81], v[84:85], v[100:101], v[80:81] neg_lo:[0,0,1] neg_hi:[0,0,1]
	v_mov_b32_e32 v85, v78
	v_mov_b32_e32 v78, v87
	;; [unrolled: 1-line block ×3, first 2 shown]
	v_pk_mul_f32 v[78:79], v[78:79], v[90:91]
	v_mov_b32_e32 v0, v5
	v_pk_fma_f32 v[86:87], v[86:87], v[98:99], v[78:79]
	v_pk_fma_f32 v[78:79], v[84:85], v[98:99], v[78:79] neg_lo:[0,0,1] neg_hi:[0,0,1]
	v_pk_mul_f32 v[84:85], v[88:89], v[4:5] op_sel_hi:[1,0]
	v_mov_b32_e32 v108, v68
	v_pk_fma_f32 v[90:91], v[88:89], v[0:1], v[84:85] op_sel:[0,0,1] op_sel_hi:[1,1,0]
	v_pk_fma_f32 v[4:5], v[88:89], v[4:5], v[84:85] op_sel:[0,1,1] op_sel_hi:[1,1,0] neg_lo:[1,0,0] neg_hi:[1,0,0]
	v_pk_fma_f32 v[66:67], v[6:7], v[10:11], v[110:111] op_sel:[0,0,1] op_sel_hi:[1,1,0]
	v_pk_fma_f32 v[6:7], v[6:7], v[20:21], v[110:111] op_sel:[0,0,1] op_sel_hi:[1,0,0] neg_lo:[1,0,0] neg_hi:[1,0,0]
	v_mov_b32_e32 v75, v1
	v_mov_b32_e32 v77, v81
	;; [unrolled: 1-line block ×6, first 2 shown]
	v_pk_fma_f32 v[18:19], v[68:69], v[18:19], v[22:23] op_sel:[0,1,0]
	v_pk_fma_f32 v[22:23], v[108:109], v[94:95], v[22:23] neg_lo:[0,0,1] neg_hi:[0,0,1]
	v_pk_add_f32 v[94:95], v[8:9], v[12:13]
	v_pk_add_f32 v[84:85], v[74:75], v[90:91]
	;; [unrolled: 1-line block ×4, first 2 shown]
	v_mov_b32_e32 v5, v8
	v_mov_b32_e32 v4, v1
	;; [unrolled: 1-line block ×8, first 2 shown]
	v_pk_add_f32 v[74:75], v[74:75], v[90:91] neg_lo:[0,1] neg_hi:[0,1]
	v_pk_add_f32 v[76:77], v[76:77], v[86:87] neg_lo:[0,1] neg_hi:[0,1]
	;; [unrolled: 1-line block ×3, first 2 shown]
	v_pk_add_f32 v[86:87], v[94:95], v[0:1]
	v_pk_add_f32 v[78:79], v[78:79], v[80:81]
	v_mov_b32_e32 v16, v4
	v_mov_b32_e32 v17, v75
	;; [unrolled: 1-line block ×6, first 2 shown]
	v_pk_add_f32 v[16:17], v[16:17], v[76:77] neg_lo:[0,1] neg_hi:[0,1]
	v_pk_add_f32 v[80:81], v[80:81], v[94:95] neg_lo:[0,1] neg_hi:[0,1]
	v_mov_b32_e32 v1, v87
	v_mov_b32_e32 v90, v78
	;; [unrolled: 1-line block ×3, first 2 shown]
	v_pk_add_f32 v[78:79], v[86:87], v[78:79]
	v_pk_add_f32 v[8:9], v[8:9], v[4:5] neg_lo:[0,1] neg_hi:[0,1]
	v_pk_mul_f32 v[16:17], v[16:17], s[10:11]
	v_pk_add_f32 v[20:21], v[76:77], v[4:5]
	v_pk_add_f32 v[90:91], v[0:1], v[90:91] neg_lo:[0,1] neg_hi:[0,1]
	v_pk_add_f32 v[58:59], v[78:79], v[58:59]
	v_pk_mul_f32 v[80:81], v[80:81], s[16:17]
	v_pk_mul_f32 v[12:13], v[8:9], s[8:9]
	v_pk_add_f32 v[20:21], v[20:21], v[74:75]
	v_pk_mul_f32 v[86:87], v[90:91], s[18:19]
	v_pk_fma_f32 v[78:79], v[78:79], s[20:21], v[58:59] op_sel_hi:[1,0,1] neg_lo:[1,0,0] neg_hi:[1,0,0]
	v_pk_fma_f32 v[90:91], v[90:91], s[18:19], v[80:81]
	v_pk_fma_f32 v[8:9], v[8:9], s[8:9], v[16:17]
	v_pk_add_f32 v[90:91], v[90:91], v[78:79]
	v_pk_fma_f32 v[8:9], v[20:21], s[6:7], v[8:9] op_sel_hi:[1,0,1]
	v_mov_b32_e32 v77, v5
	v_pk_add_f32 v[96:97], v[90:91], v[8:9]
	v_pk_add_f32 v[8:9], v[90:91], v[8:9] neg_lo:[0,1] neg_hi:[0,1]
	v_mov_b32_e32 v90, v96
	v_mov_b32_e32 v91, v9
	;; [unrolled: 1-line block ×4, first 2 shown]
	ds_write2_b64 v43, v[58:59], v[90:91] offset1:54
	v_pk_add_f32 v[4:5], v[76:77], v[74:75] neg_lo:[0,1] neg_hi:[0,1]
	v_pk_add_f32 v[0:1], v[94:95], v[0:1] neg_lo:[0,1] neg_hi:[0,1]
	v_mov_b32_e32 v58, v86
	v_mov_b32_e32 v59, v81
	v_mov_b32_e32 v74, v12
	v_mov_b32_e32 v75, v17
	v_mov_b32_e32 v81, v87
	v_mov_b32_e32 v17, v13
	v_mov_b32_e32 v67, v7
	v_mov_b32_e32 v104, v7
	v_mov_b32_e32 v3, v117
	v_pk_fma_f32 v[58:59], v[0:1], s[14:15], v[58:59] op_sel_hi:[1,0,1] neg_lo:[1,0,1] neg_hi:[1,0,1]
	v_pk_fma_f32 v[74:75], v[4:5], s[12:13], v[74:75] op_sel_hi:[1,0,1] neg_lo:[1,0,1] neg_hi:[1,0,1]
	;; [unrolled: 1-line block ×4, first 2 shown]
	v_mov_b32_e32 v19, v23
	v_pk_add_f32 v[6:7], v[114:115], v[66:67]
	v_pk_add_f32 v[10:11], v[114:115], v[66:67] neg_lo:[0,1] neg_hi:[0,1]
	v_pk_add_f32 v[66:67], v[92:93], v[104:105]
	v_pk_add_f32 v[68:69], v[64:65], v[2:3]
	v_mov_b32_e32 v73, v15
	v_pk_add_f32 v[58:59], v[58:59], v[78:79]
	v_pk_fma_f32 v[74:75], v[20:21], s[6:7], v[74:75] op_sel_hi:[1,0,1]
	v_pk_add_f32 v[0:1], v[0:1], v[78:79]
	v_pk_fma_f32 v[4:5], v[20:21], s[6:7], v[4:5] op_sel_hi:[1,0,1]
	v_mov_b32_e32 v70, v67
	v_pk_add_f32 v[82:83], v[18:19], v[72:73]
	v_pk_add_f32 v[18:19], v[18:19], v[72:73] neg_lo:[0,1] neg_hi:[0,1]
	v_mov_b32_e32 v71, v64
	v_mov_b32_e32 v64, v69
	;; [unrolled: 1-line block ×3, first 2 shown]
	v_pk_add_f32 v[76:77], v[58:59], v[74:75]
	v_pk_add_f32 v[58:59], v[58:59], v[74:75] neg_lo:[0,1] neg_hi:[0,1]
	v_pk_add_f32 v[12:13], v[0:1], v[4:5] neg_lo:[0,1] neg_hi:[0,1]
	v_pk_add_f32 v[0:1], v[0:1], v[4:5]
	v_pk_add_f32 v[2:3], v[70:71], v[64:65] neg_lo:[0,1] neg_hi:[0,1]
	v_mov_b32_e32 v64, v10
	v_mov_b32_e32 v65, v19
	;; [unrolled: 1-line block ×7, first 2 shown]
	v_pk_add_f32 v[64:65], v[64:65], v[2:3] neg_lo:[0,1] neg_hi:[0,1]
	v_mov_b32_e32 v72, v2
	v_pk_add_f32 v[92:93], v[18:19], v[2:3]
	ds_write2_b64 v43, v[74:75], v[4:5] offset0:108 offset1:162
	v_mov_b32_e32 v1, v13
	v_mov_b32_e32 v59, v77
	v_add_u32_e32 v2, 0x400, v43
	ds_write_b64 v43, v[8:9] offset:2592
	v_mov_b32_e32 v4, v15
	v_mov_b32_e32 v5, v82
	;; [unrolled: 1-line block ×4, first 2 shown]
	ds_write2_b64 v2, v[0:1], v[58:59] offset0:88 offset1:142
	v_pk_add_f32 v[0:1], v[68:69], v[66:67]
	v_pk_add_f32 v[4:5], v[4:5], v[8:9]
	v_mov_b32_e32 v73, v11
	v_mov_b32_e32 v8, v4
	;; [unrolled: 1-line block ×3, first 2 shown]
	v_pk_add_f32 v[72:73], v[72:73], v[18:19] neg_lo:[0,1] neg_hi:[0,1]
	v_pk_add_f32 v[8:9], v[8:9], v[68:69] neg_lo:[0,1] neg_hi:[0,1]
	v_mov_b32_e32 v67, v1
	v_mov_b32_e32 v12, v4
	v_mov_b32_e32 v13, v82
	v_pk_add_f32 v[0:1], v[0:1], v[4:5]
	v_pk_mul_f32 v[72:73], v[72:73], s[10:11]
	v_pk_add_f32 v[12:13], v[66:67], v[12:13] neg_lo:[0,1] neg_hi:[0,1]
	v_pk_add_f32 v[4:5], v[0:1], v[56:57]
	v_pk_mul_f32 v[8:9], v[8:9], s[16:17]
	v_pk_add_f32 v[92:93], v[92:93], v[10:11]
	v_pk_mul_f32 v[14:15], v[12:13], s[18:19]
	v_pk_fma_f32 v[0:1], v[0:1], s[20:21], v[4:5] op_sel_hi:[1,0,1] neg_lo:[1,0,0] neg_hi:[1,0,0]
	v_pk_fma_f32 v[12:13], v[12:13], s[18:19], v[8:9]
	v_pk_fma_f32 v[16:17], v[64:65], s[8:9], v[72:73]
	v_pk_add_f32 v[12:13], v[12:13], v[0:1]
	v_pk_fma_f32 v[16:17], v[92:93], s[6:7], v[16:17] op_sel_hi:[1,0,1]
	v_pk_mul_f32 v[70:71], v[64:65], s[8:9]
	v_pk_add_f32 v[20:21], v[12:13], v[16:17]
	v_pk_add_f32 v[12:13], v[12:13], v[16:17] neg_lo:[0,1] neg_hi:[0,1]
	v_mov_b32_e32 v16, v20
	v_mov_b32_e32 v17, v13
	v_mov_b32_e32 v19, v3
	v_mov_b32_e32 v69, v82
	v_mov_b32_e32 v67, v6
	ds_write2_b64 v116, v[4:5], v[16:17] offset1:54
	v_pk_add_f32 v[2:3], v[18:19], v[10:11] neg_lo:[0,1] neg_hi:[0,1]
	v_pk_add_f32 v[4:5], v[68:69], v[66:67] neg_lo:[0,1] neg_hi:[0,1]
	v_mov_b32_e32 v6, v14
	v_mov_b32_e32 v7, v9
	;; [unrolled: 1-line block ×6, first 2 shown]
	v_pk_fma_f32 v[6:7], v[4:5], s[14:15], v[6:7] op_sel_hi:[1,0,1] neg_lo:[1,0,1] neg_hi:[1,0,1]
	v_pk_fma_f32 v[10:11], v[2:3], s[12:13], v[10:11] op_sel_hi:[1,0,1] neg_lo:[1,0,1] neg_hi:[1,0,1]
	;; [unrolled: 1-line block ×4, first 2 shown]
	v_pk_add_f32 v[6:7], v[6:7], v[0:1]
	v_pk_fma_f32 v[10:11], v[92:93], s[6:7], v[10:11] op_sel_hi:[1,0,1]
	v_pk_add_f32 v[0:1], v[4:5], v[0:1]
	v_pk_fma_f32 v[2:3], v[92:93], s[6:7], v[2:3] op_sel_hi:[1,0,1]
	v_pk_add_f32 v[16:17], v[6:7], v[10:11]
	v_pk_add_f32 v[6:7], v[6:7], v[10:11] neg_lo:[0,1] neg_hi:[0,1]
	v_pk_add_f32 v[4:5], v[0:1], v[2:3] neg_lo:[0,1] neg_hi:[0,1]
	v_pk_add_f32 v[0:1], v[0:1], v[2:3]
	v_mov_b32_e32 v10, v16
	v_mov_b32_e32 v11, v7
	;; [unrolled: 1-line block ×4, first 2 shown]
	ds_write2_b64 v116, v[10:11], v[2:3] offset0:108 offset1:162
	v_mov_b32_e32 v1, v5
	v_mov_b32_e32 v7, v17
	v_add_u32_e32 v2, 0x400, v116
	v_mov_b32_e32 v13, v21
	ds_write2_b64 v2, v[0:1], v[6:7] offset0:88 offset1:142
	ds_write_b64 v116, v[12:13] offset:2592
	s_and_saveexec_b64 s[20:21], s[2:3]
	s_cbranch_execz .LBB0_19
; %bb.18:
	v_lshrrev_b16_e32 v0, 1, v35
	v_mul_u32_u24_e32 v0, 0x97b5, v0
	v_lshrrev_b32_e32 v0, 20, v0
	v_mul_lo_u16_e32 v0, 54, v0
	v_sub_u16_e32 v15, v35, v0
	v_mul_u32_u24_e32 v0, 6, v15
	v_lshlrev_b32_e32 v12, 3, v0
	global_load_dwordx4 v[0:3], v12, s[4:5] offset:416
	global_load_dwordx4 v[4:7], v12, s[4:5] offset:448
	;; [unrolled: 1-line block ×3, first 2 shown]
	v_mov_b32_e32 v12, v48
	v_mov_b32_e32 v13, v51
	;; [unrolled: 1-line block ×11, first 2 shown]
	v_lshl_add_u32 v35, v15, 3, 0
	v_mov_b32_e32 v43, v55
	s_mov_b32 s2, 0xbf955555
	s_waitcnt vmcnt(2)
	v_mov_b32_e32 v66, v3
	s_waitcnt vmcnt(1)
	v_mov_b32_e32 v70, v5
	;; [unrolled: 2-line block ×3, first 2 shown]
	v_mov_b32_e32 v71, v9
	v_pk_mul_f32 v[58:59], v[40:41], v[0:1] op_sel_hi:[0,1]
	v_pk_mul_f32 v[52:53], v[52:53], v[6:7] op_sel_hi:[0,1]
	v_mov_b32_e32 v64, v2
	v_mov_b32_e32 v65, v10
	;; [unrolled: 1-line block ×4, first 2 shown]
	v_mul_f32_e32 v21, v45, v3
	v_mul_f32_e32 v49, v49, v5
	v_mul_f32_e32 v15, v47, v10
	v_pk_mul_f32 v[18:19], v[18:19], v[66:67]
	v_pk_mul_f32 v[12:13], v[12:13], v[70:71]
	v_mul_f32_e32 v45, v51, v8
	v_mul_f32_e32 v11, v46, v11
	v_fma_f32 v44, v44, v2, -v21
	v_fma_f32 v8, v48, v4, -v49
	v_pk_fma_f32 v[46:47], v[56:57], v[6:7], v[52:53] op_sel:[0,0,1] op_sel_hi:[0,1,0]
	v_pk_fma_f32 v[6:7], v[56:57], v[6:7], v[52:53] op_sel:[0,0,1] op_sel_hi:[0,1,0] neg_lo:[1,0,0] neg_hi:[1,0,0]
	v_pk_fma_f32 v[48:49], v[40:41], v[0:1], v[58:59] op_sel:[1,0,1] op_sel_hi:[1,1,0]
	v_pk_fma_f32 v[0:1], v[40:41], v[0:1], v[58:59] op_sel:[1,0,1] op_sel_hi:[1,1,0] neg_lo:[1,0,0] neg_hi:[1,0,0]
	v_pk_fma_f32 v[4:5], v[14:15], v[4:5], v[12:13]
	v_pk_fma_f32 v[12:13], v[16:17], v[68:69], v[12:13] neg_lo:[0,0,1] neg_hi:[0,0,1]
	v_pk_fma_f32 v[2:3], v[20:21], v[2:3], v[18:19]
	v_pk_fma_f32 v[16:17], v[22:23], v[64:65], v[18:19] neg_lo:[0,0,1] neg_hi:[0,0,1]
	v_mul_f32_e32 v9, v50, v9
	v_mov_b32_e32 v47, v7
	v_mov_b32_e32 v49, v1
	v_mov_b32_e32 v14, v1
	v_mov_b32_e32 v10, v7
	v_mov_b32_e32 v5, v13
	v_mov_b32_e32 v3, v17
	v_pk_add_f32 v[40:41], v[44:45], v[8:9]
	v_mov_b32_e32 v7, v8
	v_pk_add_f32 v[8:9], v[48:49], v[46:47]
	v_pk_add_f32 v[10:11], v[14:15], v[10:11]
	v_mov_b32_e32 v14, v17
	v_pk_add_f32 v[16:17], v[2:3], v[4:5]
	v_mov_b32_e32 v12, v13
	v_mov_b32_e32 v15, v8
	;; [unrolled: 1-line block ×6, first 2 shown]
	v_pk_add_f32 v[22:23], v[40:41], v[10:11]
	v_pk_add_f32 v[12:13], v[12:13], v[14:15]
	v_pk_add_f32 v[18:19], v[48:49], v[46:47] neg_lo:[0,1] neg_hi:[0,1]
	v_pk_add_f32 v[0:1], v[0:1], v[6:7] neg_lo:[0,1] neg_hi:[0,1]
	v_mov_b32_e32 v11, v23
	v_mov_b32_e32 v41, v23
	v_pk_add_f32 v[22:23], v[22:23], v[12:13]
	v_mov_b32_e32 v13, v16
	v_pk_add_f32 v[2:3], v[2:3], v[4:5] neg_lo:[0,1] neg_hi:[0,1]
	v_mov_b32_e32 v5, v19
	v_mov_b32_e32 v4, v0
	v_pk_add_f32 v[44:45], v[10:11], v[12:13] neg_lo:[0,1] neg_hi:[0,1]
	v_mov_b32_e32 v13, v8
	v_mov_b32_e32 v20, v18
	v_mov_b32_e32 v21, v3
	v_pk_add_f32 v[4:5], v[4:5], v[2:3] neg_lo:[0,1] neg_hi:[0,1]
	v_pk_add_f32 v[12:13], v[12:13], v[40:41] neg_lo:[0,1] neg_hi:[0,1]
	v_pk_add_f32 v[6:7], v[2:3], v[0:1]
	v_pk_add_f32 v[20:21], v[20:21], v[0:1] neg_lo:[0,1] neg_hi:[0,1]
	v_pk_mul_f32 v[4:5], v[4:5], s[10:11]
	v_pk_add_f32 v[42:43], v[42:43], v[22:23]
	v_pk_mul_f32 v[12:13], v[12:13], s[16:17]
	v_pk_add_f32 v[6:7], v[6:7], v[18:19]
	v_pk_mul_f32 v[14:15], v[20:21], s[8:9]
	v_pk_mul_f32 v[46:47], v[44:45], s[18:19]
	v_pk_fma_f32 v[22:23], v[22:23], s[2:3], v[42:43] op_sel_hi:[1,0,1]
	v_pk_fma_f32 v[20:21], v[20:21], s[8:9], v[4:5]
	v_pk_fma_f32 v[44:45], v[44:45], s[18:19], v[12:13]
	v_pk_fma_f32 v[20:21], v[6:7], s[6:7], v[20:21] op_sel_hi:[1,0,1]
	v_pk_add_f32 v[44:45], v[44:45], v[22:23]
	v_add_u32_e32 v0, 0x2c00, v35
	v_pk_add_f32 v[48:49], v[44:45], v[20:21]
	v_pk_add_f32 v[20:21], v[44:45], v[20:21] neg_lo:[0,1] neg_hi:[0,1]
	v_mov_b32_e32 v44, v48
	v_mov_b32_e32 v45, v21
	;; [unrolled: 1-line block ×5, first 2 shown]
	ds_write2_b64 v0, v[42:43], v[44:45] offset0:104 offset1:158
	v_pk_add_f32 v[0:1], v[2:3], v[18:19] neg_lo:[0,1] neg_hi:[0,1]
	v_mov_b32_e32 v2, v46
	v_mov_b32_e32 v3, v13
	v_pk_add_f32 v[8:9], v[40:41], v[10:11] neg_lo:[0,1] neg_hi:[0,1]
	v_mov_b32_e32 v10, v14
	v_mov_b32_e32 v11, v5
	;; [unrolled: 1-line block ×4, first 2 shown]
	v_pk_fma_f32 v[2:3], v[8:9], s[14:15], v[2:3] op_sel_hi:[1,0,1] neg_lo:[1,0,1] neg_hi:[1,0,1]
	v_pk_fma_f32 v[10:11], v[0:1], s[12:13], v[10:11] op_sel_hi:[1,0,1] neg_lo:[1,0,1] neg_hi:[1,0,1]
	;; [unrolled: 1-line block ×4, first 2 shown]
	v_pk_add_f32 v[2:3], v[2:3], v[22:23]
	v_pk_fma_f32 v[10:11], v[6:7], s[6:7], v[10:11] op_sel_hi:[1,0,1]
	v_pk_fma_f32 v[0:1], v[6:7], s[6:7], v[0:1] op_sel_hi:[1,0,1]
	v_pk_add_f32 v[4:5], v[4:5], v[22:23]
	v_pk_add_f32 v[16:17], v[2:3], v[10:11]
	v_pk_add_f32 v[2:3], v[2:3], v[10:11] neg_lo:[0,1] neg_hi:[0,1]
	v_pk_add_f32 v[6:7], v[4:5], v[0:1] neg_lo:[0,1] neg_hi:[0,1]
	v_pk_add_f32 v[0:1], v[4:5], v[0:1]
	v_mov_b32_e32 v10, v16
	v_mov_b32_e32 v11, v3
	;; [unrolled: 1-line block ×4, first 2 shown]
	v_add_u32_e32 v6, 0x3000, v35
	v_mov_b32_e32 v1, v7
	v_mov_b32_e32 v3, v17
	v_mov_b32_e32 v21, v49
	ds_write2_b64 v6, v[10:11], v[4:5] offset0:84 offset1:138
	ds_write2_b64 v6, v[0:1], v[2:3] offset0:192 offset1:246
	ds_write_b64 v35, v[20:21] offset:14688
.LBB0_19:
	s_or_b64 exec, exec, s[20:21]
	v_lshlrev_b32_e32 v0, 2, v24
	v_mov_b32_e32 v1, 0
	v_lshl_add_u64 v[6:7], v[0:1], 3, s[4:5]
	v_lshlrev_b32_e32 v0, 2, v28
	s_waitcnt lgkmcnt(0)
	s_barrier
	global_load_dwordx4 v[2:5], v[6:7], off offset:3024
	global_load_dwordx4 v[12:15], v[6:7], off offset:3008
	v_lshl_add_u64 v[6:7], v[0:1], 3, s[4:5]
	global_load_dwordx4 v[16:19], v[6:7], off offset:3008
	global_load_dwordx4 v[20:23], v[6:7], off offset:3024
	v_lshlrev_b32_e32 v0, 2, v38
	v_lshl_add_u64 v[6:7], v[0:1], 3, s[4:5]
	global_load_dwordx4 v[40:43], v[6:7], off offset:3008
	global_load_dwordx4 v[44:47], v[6:7], off offset:3024
	v_add_u32_e32 v0, 0x1c00, v60
	v_add_u32_e32 v6, 0x2c00, v60
	;; [unrolled: 1-line block ×4, first 2 shown]
	v_lshl_add_u32 v8, v30, 3, 0
	v_add_u32_e32 v11, 0x13a0, v60
	v_add_u32_e32 v35, 0x2400, v60
	;; [unrolled: 1-line block ×3, first 2 shown]
	ds_read2_b64 v[48:51], v0 offset0:112 offset1:238
	ds_read2_b64 v[56:59], v6 offset0:104 offset1:230
	ds_read2_b32 v[6:7], v7 offset0:240 offset1:241
	ds_read2_b64 v[64:67], v11 offset0:2 offset1:254
	ds_read2_b64 v[68:71], v35 offset0:108 offset1:234
	ds_read_b64 v[52:53], v54
	ds_read_b64 v[72:73], v10
	;; [unrolled: 1-line block ×4, first 2 shown]
	ds_read_b64 v[78:79], v60 offset:14112
	ds_read_b64 v[80:81], v60
	s_waitcnt lgkmcnt(8)
	v_mov_b32_e32 v0, v7
	s_waitcnt lgkmcnt(0)
	s_barrier
	s_mov_b32 s6, 0x3f737871
	s_mov_b32 s8, 0x3f167918
	;; [unrolled: 1-line block ×3, first 2 shown]
	s_add_u32 s4, s4, 0x3b00
	s_addc_u32 s5, s5, 0
	v_sub_u32_e32 v11, 0, v25
	s_waitcnt vmcnt(5)
	v_pk_mul_f32 v[86:87], v[2:3], v[50:51] op_sel:[0,1]
	s_waitcnt vmcnt(4)
	v_pk_mul_f32 v[82:83], v[12:13], v[74:75] op_sel:[0,1]
	v_pk_mul_f32 v[84:85], v[14:15], v[76:77] op_sel:[0,1]
	s_waitcnt vmcnt(3)
	v_pk_mul_f32 v[88:89], v[0:1], v[16:17] op_sel_hi:[0,1]
	v_mov_b32_e32 v0, v19
	s_waitcnt vmcnt(2)
	v_pk_mul_f32 v[90:91], v[68:69], v[20:21] op_sel:[0,1]
	v_mov_b32_e32 v92, v23
	v_pk_fma_f32 v[94:95], v[12:13], v[74:75], v[82:83] op_sel:[0,0,1] op_sel_hi:[1,1,0] neg_lo:[0,0,1] neg_hi:[0,0,1]
	v_pk_fma_f32 v[12:13], v[12:13], v[74:75], v[82:83] op_sel:[0,0,1] op_sel_hi:[1,0,0]
	v_pk_fma_f32 v[74:75], v[14:15], v[76:77], v[84:85] op_sel:[0,0,1] op_sel_hi:[1,1,0] neg_lo:[0,0,1] neg_hi:[0,0,1]
	v_pk_fma_f32 v[14:15], v[14:15], v[76:77], v[84:85] op_sel:[0,0,1] op_sel_hi:[1,0,0]
	;; [unrolled: 2-line block ×3, first 2 shown]
	s_waitcnt vmcnt(1)
	v_pk_mul_f32 v[50:51], v[64:65], v[40:41] op_sel:[0,1]
	v_mov_b32_e32 v2, v43
	v_pk_fma_f32 v[84:85], v[16:17], v[6:7], v[88:89] op_sel:[0,0,1] op_sel_hi:[1,1,0] neg_lo:[0,0,1] neg_hi:[0,0,1]
	v_pk_fma_f32 v[6:7], v[16:17], v[6:7], v[88:89] op_sel:[0,0,1] op_sel_hi:[1,0,0]
	v_pk_mul_f32 v[16:17], v[66:67], v[0:1] op_sel_hi:[1,0]
	v_pk_fma_f32 v[86:87], v[68:69], v[20:21], v[90:91] op_sel:[0,0,1] op_sel_hi:[1,1,0] neg_lo:[0,0,1] neg_hi:[0,0,1]
	v_pk_fma_f32 v[20:21], v[68:69], v[20:21], v[90:91] op_sel:[0,0,1] op_sel_hi:[1,0,0]
	v_pk_mul_f32 v[68:69], v[58:59], v[92:93] op_sel_hi:[1,0]
	v_mov_b32_e32 v75, v15
	v_pk_fma_f32 v[14:15], v[64:65], v[40:41], v[50:51] op_sel:[0,0,1] op_sel_hi:[1,1,0] neg_lo:[0,0,1] neg_hi:[0,0,1]
	v_pk_fma_f32 v[40:41], v[64:65], v[40:41], v[50:51] op_sel:[0,0,1] op_sel_hi:[1,0,0]
	v_pk_mul_f32 v[50:51], v[48:49], v[2:3] op_sel_hi:[1,0]
	v_mov_b32_e32 v85, v7
	v_pk_fma_f32 v[6:7], v[66:67], v[18:19], v[16:17] op_sel:[0,0,1] op_sel_hi:[1,1,0] neg_lo:[0,0,1] neg_hi:[0,0,1]
	v_pk_fma_f32 v[16:17], v[66:67], v[18:19], v[16:17] op_sel:[0,0,1] op_sel_hi:[1,0,0]
	v_mov_b32_e32 v87, v21
	v_pk_fma_f32 v[18:19], v[58:59], v[22:23], v[68:69] op_sel:[0,0,1] op_sel_hi:[1,1,0] neg_lo:[0,0,1] neg_hi:[0,0,1]
	v_pk_fma_f32 v[20:21], v[58:59], v[22:23], v[68:69] op_sel:[0,0,1] op_sel_hi:[1,0,0]
	v_mov_b32_e32 v77, v3
	v_pk_mul_f32 v[2:3], v[4:5], v[56:57] op_sel:[0,1]
	v_mov_b32_e32 v95, v13
	v_mov_b32_e32 v19, v21
	v_pk_fma_f32 v[20:21], v[4:5], v[56:57], v[2:3] op_sel:[0,0,1] op_sel_hi:[1,1,0] neg_lo:[0,0,1] neg_hi:[0,0,1]
	v_pk_fma_f32 v[2:3], v[4:5], v[56:57], v[2:3] op_sel:[0,0,1] op_sel_hi:[1,0,0]
	s_waitcnt vmcnt(0)
	v_pk_mul_f32 v[82:83], v[70:71], v[44:45] op_sel:[0,1]
	v_mov_b32_e32 v21, v3
	v_pk_add_f32 v[2:3], v[80:81], v[94:95]
	v_mov_b32_e32 v12, v47
	v_pk_add_f32 v[2:3], v[2:3], v[74:75]
	v_pk_fma_f32 v[64:65], v[70:71], v[44:45], v[82:83] op_sel:[0,0,1] op_sel_hi:[1,1,0] neg_lo:[0,0,1] neg_hi:[0,0,1]
	v_pk_add_f32 v[2:3], v[2:3], v[76:77]
	v_pk_fma_f32 v[44:45], v[70:71], v[44:45], v[82:83] op_sel:[0,0,1] op_sel_hi:[1,0,0]
	v_pk_add_f32 v[2:3], v[2:3], v[20:21]
	v_mov_b32_e32 v15, v41
	v_pk_fma_f32 v[22:23], v[48:49], v[42:43], v[50:51] op_sel:[0,0,1] op_sel_hi:[1,1,0] neg_lo:[0,0,1] neg_hi:[0,0,1]
	v_pk_fma_f32 v[40:41], v[48:49], v[42:43], v[50:51] op_sel:[0,0,1] op_sel_hi:[1,0,0]
	ds_write_b64 v60, v[2:3]
	v_pk_add_f32 v[2:3], v[74:75], v[76:77]
	v_pk_add_f32 v[4:5], v[94:95], v[20:21] neg_lo:[0,1] neg_hi:[0,1]
	v_pk_mul_f32 v[12:13], v[78:79], v[12:13] op_sel_hi:[1,0]
	v_mov_b32_e32 v65, v45
	v_mov_b32_e32 v23, v41
	v_pk_fma_f32 v[2:3], v[2:3], 0.5, v[80:81] op_sel_hi:[1,0,1] neg_lo:[1,0,0] neg_hi:[1,0,0]
	v_pk_mul_f32 v[40:41], v[4:5], s[6:7] op_sel_hi:[1,0]
	v_pk_add_f32 v[44:45], v[74:75], v[76:77] neg_lo:[0,1] neg_hi:[0,1]
	v_pk_add_f32 v[48:49], v[94:95], v[74:75] neg_lo:[0,1] neg_hi:[0,1]
	;; [unrolled: 1-line block ×3, first 2 shown]
	v_pk_fma_f32 v[42:43], v[78:79], v[46:47], v[12:13] op_sel:[0,0,1] op_sel_hi:[1,1,0] neg_lo:[0,0,1] neg_hi:[0,0,1]
	v_pk_fma_f32 v[12:13], v[78:79], v[46:47], v[12:13] op_sel:[0,0,1] op_sel_hi:[1,0,0]
	v_pk_mul_f32 v[46:47], v[44:45], s[8:9] op_sel_hi:[1,0]
	v_pk_add_f32 v[48:49], v[48:49], v[50:51]
	v_pk_add_f32 v[50:51], v[2:3], v[40:41] op_sel:[0,1] op_sel_hi:[1,0]
	v_pk_add_f32 v[2:3], v[2:3], v[40:41] op_sel:[0,1] op_sel_hi:[1,0] neg_lo:[0,1] neg_hi:[0,1]
	v_pk_add_f32 v[40:41], v[50:51], v[46:47] op_sel:[0,1] op_sel_hi:[1,0]
	v_pk_add_f32 v[2:3], v[2:3], v[46:47] op_sel:[0,1] op_sel_hi:[1,0] neg_lo:[0,1] neg_hi:[0,1]
	v_mov_b32_e32 v46, v40
	v_mov_b32_e32 v47, v3
	v_pk_fma_f32 v[46:47], v[48:49], s[2:3], v[46:47] op_sel_hi:[1,0,1]
	ds_write_b64 v60, v[46:47] offset:3024
	v_pk_add_f32 v[46:47], v[94:95], v[20:21]
	v_pk_add_f32 v[50:51], v[74:75], v[94:95] neg_lo:[0,1] neg_hi:[0,1]
	v_pk_fma_f32 v[46:47], v[46:47], 0.5, v[80:81] op_sel_hi:[1,0,1] neg_lo:[1,0,0] neg_hi:[1,0,0]
	v_pk_add_f32 v[20:21], v[76:77], v[20:21] neg_lo:[0,1] neg_hi:[0,1]
	v_pk_mul_f32 v[44:45], v[44:45], s[6:7] op_sel_hi:[1,0]
	v_pk_add_f32 v[20:21], v[50:51], v[20:21]
	v_pk_mul_f32 v[4:5], v[4:5], s[8:9] op_sel_hi:[1,0]
	v_pk_add_f32 v[50:51], v[46:47], v[44:45] op_sel:[0,1] op_sel_hi:[1,0] neg_lo:[0,1] neg_hi:[0,1]
	v_pk_add_f32 v[44:45], v[46:47], v[44:45] op_sel:[0,1] op_sel_hi:[1,0]
	v_mov_b32_e32 v7, v17
	v_pk_add_f32 v[16:17], v[72:73], v[84:85]
	v_pk_add_f32 v[44:45], v[44:45], v[4:5] op_sel:[0,1] op_sel_hi:[1,0] neg_lo:[0,1] neg_hi:[0,1]
	v_pk_add_f32 v[4:5], v[50:51], v[4:5] op_sel:[0,1] op_sel_hi:[1,0]
	v_pk_add_f32 v[16:17], v[16:17], v[6:7]
	v_mov_b32_e32 v46, v4
	v_mov_b32_e32 v47, v45
	;; [unrolled: 1-line block ×4, first 2 shown]
	v_pk_add_f32 v[16:17], v[16:17], v[86:87]
	v_pk_fma_f32 v[46:47], v[20:21], s[2:3], v[46:47] op_sel_hi:[1,0,1]
	v_pk_fma_f32 v[4:5], v[20:21], s[2:3], v[44:45] op_sel_hi:[1,0,1]
	;; [unrolled: 1-line block ×3, first 2 shown]
	v_pk_add_f32 v[16:17], v[16:17], v[18:19]
	ds_write_b64 v60, v[46:47] offset:6048
	ds_write_b64 v60, v[4:5] offset:9072
	;; [unrolled: 1-line block ×3, first 2 shown]
	ds_write_b64 v10, v[16:17]
	v_pk_add_f32 v[2:3], v[6:7], v[86:87]
	v_pk_add_f32 v[4:5], v[84:85], v[18:19] neg_lo:[0,1] neg_hi:[0,1]
	v_pk_fma_f32 v[2:3], v[2:3], 0.5, v[72:73] op_sel_hi:[1,0,1] neg_lo:[1,0,0] neg_hi:[1,0,0]
	v_pk_mul_f32 v[16:17], v[4:5], s[6:7] op_sel_hi:[1,0]
	v_pk_add_f32 v[20:21], v[6:7], v[86:87] neg_lo:[0,1] neg_hi:[0,1]
	v_pk_add_f32 v[44:45], v[84:85], v[6:7] neg_lo:[0,1] neg_hi:[0,1]
	;; [unrolled: 1-line block ×3, first 2 shown]
	v_pk_mul_f32 v[40:41], v[20:21], s[8:9] op_sel_hi:[1,0]
	v_pk_add_f32 v[44:45], v[44:45], v[46:47]
	v_pk_add_f32 v[46:47], v[2:3], v[16:17] op_sel:[0,1] op_sel_hi:[1,0]
	v_pk_add_f32 v[2:3], v[2:3], v[16:17] op_sel:[0,1] op_sel_hi:[1,0] neg_lo:[0,1] neg_hi:[0,1]
	v_pk_add_f32 v[16:17], v[46:47], v[40:41] op_sel:[0,1] op_sel_hi:[1,0]
	v_pk_add_f32 v[2:3], v[2:3], v[40:41] op_sel:[0,1] op_sel_hi:[1,0] neg_lo:[0,1] neg_hi:[0,1]
	v_mov_b32_e32 v40, v16
	v_mov_b32_e32 v41, v3
	v_pk_fma_f32 v[40:41], v[44:45], s[2:3], v[40:41] op_sel_hi:[1,0,1]
	ds_write_b64 v10, v[40:41] offset:3024
	v_pk_add_f32 v[40:41], v[84:85], v[18:19]
	v_pk_add_f32 v[6:7], v[6:7], v[84:85] neg_lo:[0,1] neg_hi:[0,1]
	v_pk_add_f32 v[18:19], v[86:87], v[18:19] neg_lo:[0,1] neg_hi:[0,1]
	v_pk_fma_f32 v[40:41], v[40:41], 0.5, v[72:73] op_sel_hi:[1,0,1] neg_lo:[1,0,0] neg_hi:[1,0,0]
	v_pk_add_f32 v[6:7], v[6:7], v[18:19]
	v_pk_mul_f32 v[18:19], v[20:21], s[6:7] op_sel_hi:[1,0]
	v_pk_mul_f32 v[4:5], v[4:5], s[8:9] op_sel_hi:[1,0]
	v_pk_add_f32 v[20:21], v[40:41], v[18:19] op_sel:[0,1] op_sel_hi:[1,0] neg_lo:[0,1] neg_hi:[0,1]
	v_pk_add_f32 v[18:19], v[40:41], v[18:19] op_sel:[0,1] op_sel_hi:[1,0]
	v_mov_b32_e32 v43, v13
	v_pk_add_f32 v[12:13], v[52:53], v[14:15]
	v_pk_add_f32 v[18:19], v[18:19], v[4:5] op_sel:[0,1] op_sel_hi:[1,0] neg_lo:[0,1] neg_hi:[0,1]
	v_pk_add_f32 v[4:5], v[20:21], v[4:5] op_sel:[0,1] op_sel_hi:[1,0]
	v_pk_add_f32 v[12:13], v[12:13], v[22:23]
	v_mov_b32_e32 v20, v4
	v_mov_b32_e32 v21, v19
	;; [unrolled: 1-line block ×4, first 2 shown]
	v_pk_add_f32 v[12:13], v[12:13], v[64:65]
	v_pk_fma_f32 v[20:21], v[6:7], s[2:3], v[20:21] op_sel_hi:[1,0,1]
	v_pk_fma_f32 v[4:5], v[6:7], s[2:3], v[18:19] op_sel_hi:[1,0,1]
	;; [unrolled: 1-line block ×3, first 2 shown]
	v_pk_add_f32 v[12:13], v[12:13], v[42:43]
	ds_write_b64 v10, v[20:21] offset:6048
	ds_write_b64 v10, v[4:5] offset:9072
	;; [unrolled: 1-line block ×3, first 2 shown]
	ds_write_b64 v54, v[12:13]
	v_pk_add_f32 v[2:3], v[22:23], v[64:65]
	v_pk_add_f32 v[4:5], v[14:15], v[42:43] neg_lo:[0,1] neg_hi:[0,1]
	v_pk_fma_f32 v[2:3], v[2:3], 0.5, v[52:53] op_sel_hi:[1,0,1] neg_lo:[1,0,0] neg_hi:[1,0,0]
	v_pk_mul_f32 v[6:7], v[4:5], s[6:7] op_sel_hi:[1,0]
	v_pk_add_f32 v[12:13], v[22:23], v[64:65] neg_lo:[0,1] neg_hi:[0,1]
	v_pk_add_f32 v[18:19], v[14:15], v[22:23] neg_lo:[0,1] neg_hi:[0,1]
	;; [unrolled: 1-line block ×3, first 2 shown]
	v_pk_mul_f32 v[16:17], v[12:13], s[8:9] op_sel_hi:[1,0]
	v_pk_add_f32 v[18:19], v[18:19], v[20:21]
	v_pk_add_f32 v[20:21], v[2:3], v[6:7] op_sel:[0,1] op_sel_hi:[1,0]
	v_pk_add_f32 v[2:3], v[2:3], v[6:7] op_sel:[0,1] op_sel_hi:[1,0] neg_lo:[0,1] neg_hi:[0,1]
	v_pk_add_f32 v[6:7], v[20:21], v[16:17] op_sel:[0,1] op_sel_hi:[1,0]
	v_pk_add_f32 v[2:3], v[2:3], v[16:17] op_sel:[0,1] op_sel_hi:[1,0] neg_lo:[0,1] neg_hi:[0,1]
	v_mov_b32_e32 v16, v6
	v_mov_b32_e32 v17, v3
	v_pk_fma_f32 v[16:17], v[18:19], s[2:3], v[16:17] op_sel_hi:[1,0,1]
	ds_write_b64 v54, v[16:17] offset:3024
	v_pk_add_f32 v[16:17], v[14:15], v[42:43]
	v_pk_add_f32 v[14:15], v[22:23], v[14:15] neg_lo:[0,1] neg_hi:[0,1]
	v_pk_fma_f32 v[16:17], v[16:17], 0.5, v[52:53] op_sel_hi:[1,0,1] neg_lo:[1,0,0] neg_hi:[1,0,0]
	v_pk_add_f32 v[20:21], v[64:65], v[42:43] neg_lo:[0,1] neg_hi:[0,1]
	v_pk_mul_f32 v[12:13], v[12:13], s[6:7] op_sel_hi:[1,0]
	v_pk_add_f32 v[14:15], v[14:15], v[20:21]
	v_pk_mul_f32 v[4:5], v[4:5], s[8:9] op_sel_hi:[1,0]
	v_pk_add_f32 v[20:21], v[16:17], v[12:13] op_sel:[0,1] op_sel_hi:[1,0] neg_lo:[0,1] neg_hi:[0,1]
	v_pk_add_f32 v[12:13], v[16:17], v[12:13] op_sel:[0,1] op_sel_hi:[1,0]
	v_mov_b32_e32 v3, v7
	v_pk_add_f32 v[12:13], v[12:13], v[4:5] op_sel:[0,1] op_sel_hi:[1,0] neg_lo:[0,1] neg_hi:[0,1]
	v_pk_add_f32 v[4:5], v[20:21], v[4:5] op_sel:[0,1] op_sel_hi:[1,0]
	v_mov_b32_e32 v17, v13
	v_mov_b32_e32 v16, v4
	v_mov_b32_e32 v13, v5
	v_pk_fma_f32 v[16:17], v[14:15], s[2:3], v[16:17] op_sel_hi:[1,0,1]
	v_pk_fma_f32 v[4:5], v[14:15], s[2:3], v[12:13] op_sel_hi:[1,0,1]
	;; [unrolled: 1-line block ×3, first 2 shown]
	ds_write_b64 v54, v[16:17] offset:6048
	ds_write_b64 v54, v[4:5] offset:9072
	;; [unrolled: 1-line block ×3, first 2 shown]
	s_waitcnt lgkmcnt(0)
	s_barrier
	ds_read_b64 v[6:7], v60
	v_cmp_ne_u32_e64 s[2:3], 0, v24
                                        ; implicit-def: $vgpr4_vgpr5
                                        ; implicit-def: $vgpr3
	s_and_saveexec_b64 s[6:7], s[2:3]
	s_xor_b64 s[2:3], exec, s[6:7]
	s_cbranch_execz .LBB0_21
; %bb.20:
	v_mov_b32_e32 v25, v1
	v_lshl_add_u64 v[0:1], v[24:25], 3, s[4:5]
	global_load_dwordx2 v[0:1], v[0:1], off
	ds_read_b64 v[2:3], v11 offset:15120
	v_mov_b32_e32 v5, 0.5
	v_mov_b32_e32 v12, v5
	s_waitcnt lgkmcnt(0)
	v_pk_add_f32 v[14:15], v[2:3], v[6:7]
	v_pk_add_f32 v[2:3], v[6:7], v[2:3] neg_lo:[0,1] neg_hi:[0,1]
	v_mov_b32_e32 v6, v15
	v_mov_b32_e32 v7, v2
	v_pk_mul_f32 v[6:7], v[6:7], 0.5 op_sel_hi:[1,0]
	s_waitcnt vmcnt(0)
	v_mov_b32_e32 v4, v1
	v_mov_b32_e32 v2, v7
	;; [unrolled: 1-line block ×4, first 2 shown]
	v_pk_mul_f32 v[2:3], v[4:5], v[2:3]
	v_pk_mul_f32 v[16:17], v[0:1], v[6:7] op_sel_hi:[0,1]
	v_pk_fma_f32 v[4:5], v[14:15], v[12:13], v[2:3]
	v_pk_fma_f32 v[12:13], v[14:15], v[12:13], v[2:3] neg_lo:[0,0,1] neg_hi:[0,0,1]
	v_add_f32_e32 v2, v16, v4
	v_sub_f32_e32 v3, v5, v17
	ds_write_b32 v60, v2
	v_pk_fma_f32 v[4:5], v[0:1], v[6:7], v[12:13] op_sel_hi:[0,1,1] neg_lo:[1,0,0] neg_hi:[1,0,0]
                                        ; implicit-def: $vgpr6_vgpr7
.LBB0_21:
	s_or_saveexec_b64 s[2:3], s[2:3]
	v_sub_u32_e32 v12, 0, v29
	v_sub_u32_e32 v13, 0, v33
	s_xor_b64 exec, exec, s[2:3]
	s_cbranch_execz .LBB0_23
; %bb.22:
	s_waitcnt lgkmcnt(0)
	v_mov_b32_e32 v0, v7
	v_pk_add_f32 v[2:3], v[6:7], v[0:1] neg_lo:[0,1] neg_hi:[0,1]
	v_add_f32_e32 v1, v7, v6
	v_mov_b32_e32 v3, 0
	ds_read_b32 v0, v3 offset:7564
	v_mov_b64_e32 v[4:5], v[2:3]
	ds_write_b32 v60, v1
	s_waitcnt lgkmcnt(1)
	v_xor_b32_e32 v0, 0x80000000, v0
	ds_write_b32 v3, v0 offset:7564
.LBB0_23:
	s_or_b64 exec, exec, s[2:3]
	v_mov_b32_e32 v29, 0
	v_lshl_add_u64 v[0:1], v[28:29], 3, s[4:5]
	s_waitcnt lgkmcnt(0)
	global_load_dwordx2 v[6:7], v[0:1], off
	v_mov_b32_e32 v39, v29
	v_lshl_add_u64 v[0:1], v[38:39], 3, s[4:5]
	global_load_dwordx2 v[14:15], v[0:1], off
	v_mov_b32_e32 v35, v29
	v_lshl_add_u64 v[0:1], v[34:35], 3, s[4:5]
	;; [unrolled: 3-line block ×3, first 2 shown]
	global_load_dwordx2 v[18:19], v[0:1], off
	v_mov_b32_e32 v33, v29
	ds_write_b32 v60, v3 offset:4
	ds_write_b64 v11, v[4:5] offset:15120
	v_lshl_add_u64 v[32:33], v[32:33], 3, s[4:5]
	ds_read_b64 v[2:3], v10
	ds_read_b64 v[4:5], v11 offset:14112
	global_load_dwordx2 v[32:33], v[32:33], off
	v_mov_b32_e32 v1, 0.5
	v_mov_b32_e32 v20, v1
	v_mov_b32_e32 v31, v29
	s_waitcnt lgkmcnt(0)
	v_pk_add_f32 v[34:35], v[2:3], v[4:5]
	v_pk_add_f32 v[2:3], v[2:3], v[4:5] neg_lo:[0,1] neg_hi:[0,1]
	v_mov_b32_e32 v4, v35
	v_mov_b32_e32 v5, v2
	v_pk_mul_f32 v[4:5], v[4:5], 0.5 op_sel_hi:[1,0]
	v_mov_b32_e32 v22, v1
	v_mov_b32_e32 v2, v5
	;; [unrolled: 1-line block ×3, first 2 shown]
	s_waitcnt vmcnt(4)
	v_mov_b32_e32 v0, v7
	v_mov_b32_e32 v21, v7
	v_pk_mul_f32 v[2:3], v[0:1], v[2:3]
	s_waitcnt vmcnt(3)
	v_mov_b32_e32 v0, v15
	v_pk_fma_f32 v[36:37], v[34:35], v[20:21], v[2:3]
	v_pk_fma_f32 v[2:3], v[34:35], v[20:21], v[2:3] neg_lo:[0,0,1] neg_hi:[0,0,1]
	v_pk_fma_f32 v[20:21], v[6:7], v[4:5], v[36:37]
	v_pk_fma_f32 v[34:35], v[6:7], v[4:5], v[36:37] op_sel_hi:[0,1,1] neg_lo:[1,0,0] neg_hi:[1,0,0]
	v_mov_b32_e32 v21, v35
	v_pk_fma_f32 v[2:3], v[6:7], v[4:5], v[2:3] op_sel_hi:[0,1,1] neg_lo:[1,0,0] neg_hi:[1,0,0]
	ds_write_b64 v10, v[20:21]
	ds_write_b64 v11, v[2:3] offset:14112
	v_lshl_add_u64 v[6:7], v[30:31], 3, s[4:5]
	ds_read_b64 v[2:3], v54
	ds_read_b64 v[4:5], v11 offset:13104
	global_load_dwordx2 v[6:7], v[6:7], off
	v_mov_b32_e32 v23, v15
	v_add_u32_e32 v10, v62, v13
	s_waitcnt vmcnt(2)
	v_mov_b32_e32 v13, v19
	s_waitcnt lgkmcnt(0)
	v_pk_add_f32 v[20:21], v[2:3], v[4:5]
	v_pk_add_f32 v[2:3], v[2:3], v[4:5] neg_lo:[0,1] neg_hi:[0,1]
	v_mov_b32_e32 v4, v21
	v_mov_b32_e32 v5, v2
	v_pk_mul_f32 v[4:5], v[4:5], 0.5 op_sel_hi:[1,0]
	s_nop 0
	v_mov_b32_e32 v2, v5
	v_mov_b32_e32 v21, v4
	v_pk_mul_f32 v[2:3], v[0:1], v[2:3]
	v_mov_b32_e32 v0, v17
	v_pk_fma_f32 v[30:31], v[20:21], v[22:23], v[2:3]
	v_pk_fma_f32 v[2:3], v[20:21], v[22:23], v[2:3] neg_lo:[0,0,1] neg_hi:[0,0,1]
	v_pk_fma_f32 v[20:21], v[14:15], v[4:5], v[30:31]
	v_pk_fma_f32 v[22:23], v[14:15], v[4:5], v[30:31] op_sel_hi:[0,1,1] neg_lo:[1,0,0] neg_hi:[1,0,0]
	v_mov_b32_e32 v21, v23
	v_pk_fma_f32 v[2:3], v[14:15], v[4:5], v[2:3] op_sel_hi:[0,1,1] neg_lo:[1,0,0] neg_hi:[1,0,0]
	ds_write_b64 v54, v[20:21]
	ds_write_b64 v11, v[2:3] offset:13104
	ds_read_b64 v[2:3], v9
	ds_read_b64 v[4:5], v11 offset:12096
	v_mov_b32_e32 v14, v1
	v_mov_b32_e32 v15, v17
	s_waitcnt lgkmcnt(0)
	v_pk_add_f32 v[20:21], v[2:3], v[4:5]
	v_pk_add_f32 v[2:3], v[2:3], v[4:5] neg_lo:[0,1] neg_hi:[0,1]
	v_mov_b32_e32 v4, v21
	v_mov_b32_e32 v5, v2
	v_pk_mul_f32 v[4:5], v[4:5], 0.5 op_sel_hi:[1,0]
	s_nop 0
	v_mov_b32_e32 v2, v5
	v_mov_b32_e32 v21, v4
	v_pk_mul_f32 v[2:3], v[0:1], v[2:3]
	v_mov_b32_e32 v0, v19
	v_pk_fma_f32 v[22:23], v[20:21], v[14:15], v[2:3]
	v_pk_fma_f32 v[2:3], v[20:21], v[14:15], v[2:3] neg_lo:[0,0,1] neg_hi:[0,0,1]
	v_pk_fma_f32 v[14:15], v[16:17], v[4:5], v[22:23]
	v_pk_fma_f32 v[20:21], v[16:17], v[4:5], v[22:23] op_sel_hi:[0,1,1] neg_lo:[1,0,0] neg_hi:[1,0,0]
	v_mov_b32_e32 v15, v21
	v_pk_fma_f32 v[2:3], v[16:17], v[4:5], v[2:3] op_sel_hi:[0,1,1] neg_lo:[1,0,0] neg_hi:[1,0,0]
	ds_write_b64 v9, v[14:15]
	ds_write_b64 v11, v[2:3] offset:12096
	ds_read_b64 v[2:3], v10
	ds_read_b64 v[4:5], v11 offset:11088
	v_add_u32_e32 v9, v61, v12
	v_mov_b32_e32 v12, v1
	s_waitcnt lgkmcnt(0)
	v_pk_add_f32 v[14:15], v[2:3], v[4:5]
	v_pk_add_f32 v[2:3], v[2:3], v[4:5] neg_lo:[0,1] neg_hi:[0,1]
	v_mov_b32_e32 v4, v15
	v_mov_b32_e32 v5, v2
	v_pk_mul_f32 v[4:5], v[4:5], 0.5 op_sel_hi:[1,0]
	s_nop 0
	v_mov_b32_e32 v2, v5
	v_mov_b32_e32 v15, v4
	v_pk_mul_f32 v[2:3], v[0:1], v[2:3]
	s_waitcnt vmcnt(1)
	v_mov_b32_e32 v0, v33
	v_pk_fma_f32 v[16:17], v[14:15], v[12:13], v[2:3]
	v_pk_fma_f32 v[2:3], v[14:15], v[12:13], v[2:3] neg_lo:[0,0,1] neg_hi:[0,0,1]
	v_pk_fma_f32 v[12:13], v[18:19], v[4:5], v[16:17]
	v_pk_fma_f32 v[14:15], v[18:19], v[4:5], v[16:17] op_sel_hi:[0,1,1] neg_lo:[1,0,0] neg_hi:[1,0,0]
	v_mov_b32_e32 v13, v15
	v_pk_fma_f32 v[2:3], v[18:19], v[4:5], v[2:3] op_sel_hi:[0,1,1] neg_lo:[1,0,0] neg_hi:[1,0,0]
	ds_write_b64 v10, v[12:13]
	ds_write_b64 v11, v[2:3] offset:11088
	ds_read_b64 v[2:3], v9
	ds_read_b64 v[4:5], v11 offset:10080
	v_mov_b32_e32 v12, v1
	v_mov_b32_e32 v13, v33
	s_waitcnt lgkmcnt(0)
	v_pk_add_f32 v[14:15], v[2:3], v[4:5]
	v_pk_add_f32 v[2:3], v[2:3], v[4:5] neg_lo:[0,1] neg_hi:[0,1]
	v_mov_b32_e32 v4, v15
	v_mov_b32_e32 v5, v2
	v_pk_mul_f32 v[4:5], v[4:5], 0.5 op_sel_hi:[1,0]
	s_nop 0
	v_mov_b32_e32 v2, v5
	v_mov_b32_e32 v15, v4
	v_pk_mul_f32 v[2:3], v[0:1], v[2:3]
	s_waitcnt vmcnt(0)
	v_mov_b32_e32 v0, v7
	v_pk_fma_f32 v[16:17], v[14:15], v[12:13], v[2:3]
	v_pk_fma_f32 v[2:3], v[14:15], v[12:13], v[2:3] neg_lo:[0,0,1] neg_hi:[0,0,1]
	v_pk_fma_f32 v[12:13], v[32:33], v[4:5], v[16:17]
	v_pk_fma_f32 v[14:15], v[32:33], v[4:5], v[16:17] op_sel_hi:[0,1,1] neg_lo:[1,0,0] neg_hi:[1,0,0]
	v_mov_b32_e32 v13, v15
	v_pk_fma_f32 v[2:3], v[32:33], v[4:5], v[2:3] op_sel_hi:[0,1,1] neg_lo:[1,0,0] neg_hi:[1,0,0]
	ds_write_b64 v9, v[12:13]
	ds_write_b64 v11, v[2:3] offset:10080
	ds_read_b64 v[2:3], v8
	ds_read_b64 v[4:5], v11 offset:9072
	v_mov_b32_e32 v12, v1
	v_mov_b32_e32 v13, v7
	s_waitcnt lgkmcnt(0)
	v_pk_add_f32 v[14:15], v[2:3], v[4:5]
	v_pk_add_f32 v[2:3], v[2:3], v[4:5] neg_lo:[0,1] neg_hi:[0,1]
	v_mov_b32_e32 v4, v15
	v_mov_b32_e32 v5, v2
	v_pk_mul_f32 v[4:5], v[4:5], 0.5 op_sel_hi:[1,0]
	s_nop 0
	v_mov_b32_e32 v2, v5
	v_mov_b32_e32 v15, v4
	v_pk_mul_f32 v[2:3], v[0:1], v[2:3]
	s_nop 0
	v_pk_fma_f32 v[16:17], v[14:15], v[12:13], v[2:3]
	v_pk_fma_f32 v[2:3], v[14:15], v[12:13], v[2:3] neg_lo:[0,0,1] neg_hi:[0,0,1]
	v_pk_fma_f32 v[12:13], v[6:7], v[4:5], v[16:17]
	v_pk_fma_f32 v[14:15], v[6:7], v[4:5], v[16:17] op_sel_hi:[0,1,1] neg_lo:[1,0,0] neg_hi:[1,0,0]
	v_mov_b32_e32 v13, v15
	v_pk_fma_f32 v[2:3], v[6:7], v[4:5], v[2:3] op_sel_hi:[0,1,1] neg_lo:[1,0,0] neg_hi:[1,0,0]
	ds_write_b64 v8, v[12:13]
	ds_write_b64 v11, v[2:3] offset:9072
	s_and_saveexec_b64 s[2:3], vcc
	s_cbranch_execz .LBB0_25
; %bb.24:
	v_add_u32_e32 v28, 0x372, v24
	v_lshl_add_u64 v[2:3], v[28:29], 3, s[4:5]
	global_load_dwordx2 v[2:3], v[2:3], off
	ds_read_b64 v[4:5], v60 offset:7056
	ds_read_b64 v[6:7], v11 offset:8064
	v_mov_b32_e32 v8, v1
	s_waitcnt lgkmcnt(0)
	v_pk_add_f32 v[12:13], v[4:5], v[6:7]
	v_pk_add_f32 v[4:5], v[4:5], v[6:7] neg_lo:[0,1] neg_hi:[0,1]
	v_mov_b32_e32 v6, v13
	v_mov_b32_e32 v7, v4
	v_pk_mul_f32 v[6:7], v[6:7], 0.5 op_sel_hi:[1,0]
	s_waitcnt vmcnt(0)
	v_mov_b32_e32 v0, v3
	v_mov_b32_e32 v4, v7
	v_mov_b32_e32 v13, v6
	v_mov_b32_e32 v9, v3
	v_pk_mul_f32 v[0:1], v[0:1], v[4:5]
	s_nop 0
	v_pk_fma_f32 v[4:5], v[12:13], v[8:9], v[0:1]
	v_pk_fma_f32 v[0:1], v[12:13], v[8:9], v[0:1] neg_lo:[0,0,1] neg_hi:[0,0,1]
	v_pk_fma_f32 v[8:9], v[2:3], v[6:7], v[4:5]
	v_pk_fma_f32 v[4:5], v[2:3], v[6:7], v[4:5] op_sel_hi:[0,1,1] neg_lo:[1,0,0] neg_hi:[1,0,0]
	v_mov_b32_e32 v9, v5
	v_pk_fma_f32 v[0:1], v[2:3], v[6:7], v[0:1] op_sel_hi:[0,1,1] neg_lo:[1,0,0] neg_hi:[1,0,0]
	ds_write_b64 v60, v[8:9] offset:7056
	ds_write_b64 v11, v[0:1] offset:8064
.LBB0_25:
	s_or_b64 exec, exec, s[2:3]
	s_waitcnt lgkmcnt(0)
	s_barrier
	s_and_saveexec_b64 s[2:3], s[0:1]
	s_cbranch_execz .LBB0_28
; %bb.26:
	ds_read2_b64 v[0:3], v60 offset1:126
	v_add_u32_e32 v4, 0x400, v60
	ds_read2_b64 v[4:7], v4 offset0:124 offset1:250
	v_mov_b32_e32 v25, 0
	v_add_u32_e32 v8, 0xc00, v60
	v_lshl_add_u64 v[12:13], v[24:25], 3, v[26:27]
	ds_read2_b64 v[8:11], v8 offset0:120 offset1:246
	s_waitcnt lgkmcnt(2)
	global_store_dwordx2 v[12:13], v[0:1], off
	global_store_dwordx2 v[12:13], v[2:3], off offset:1008
	s_waitcnt lgkmcnt(1)
	global_store_dwordx2 v[12:13], v[4:5], off offset:2016
	global_store_dwordx2 v[12:13], v[6:7], off offset:3024
	s_waitcnt lgkmcnt(0)
	global_store_dwordx2 v[12:13], v[8:9], off offset:4032
	v_add_u32_e32 v0, 0x1400, v60
	ds_read2_b64 v[0:3], v0 offset0:116 offset1:242
	v_add_u32_e32 v4, 0x1c00, v60
	v_add_co_u32_e32 v8, vcc, 0x1000, v12
	ds_read2_b64 v[4:7], v4 offset0:112 offset1:238
	s_nop 0
	v_addc_co_u32_e32 v9, vcc, 0, v13, vcc
	global_store_dwordx2 v[8:9], v[10:11], off offset:944
	s_waitcnt lgkmcnt(1)
	global_store_dwordx2 v[8:9], v[0:1], off offset:1952
	global_store_dwordx2 v[8:9], v[2:3], off offset:2960
	s_waitcnt lgkmcnt(0)
	global_store_dwordx2 v[8:9], v[4:5], off offset:3968
	v_add_u32_e32 v0, 0x2400, v60
	ds_read2_b64 v[0:3], v0 offset0:108 offset1:234
	v_add_u32_e32 v5, 0x2c00, v60
	v_add_co_u32_e32 v4, vcc, 0x2000, v12
	ds_read2_b64 v[8:11], v5 offset0:104 offset1:230
	s_nop 0
	v_addc_co_u32_e32 v5, vcc, 0, v13, vcc
	global_store_dwordx2 v[4:5], v[6:7], off offset:880
	s_waitcnt lgkmcnt(1)
	global_store_dwordx2 v[4:5], v[0:1], off offset:1888
	global_store_dwordx2 v[4:5], v[2:3], off offset:2896
	s_waitcnt lgkmcnt(0)
	global_store_dwordx2 v[4:5], v[8:9], off offset:3904
	ds_read_b64 v[2:3], v60 offset:14112
	v_add_co_u32_e32 v0, vcc, 0x3000, v12
	s_movk_i32 s0, 0x7d
	s_nop 0
	v_addc_co_u32_e32 v1, vcc, 0, v13, vcc
	v_cmp_eq_u32_e32 vcc, s0, v24
	global_store_dwordx2 v[0:1], v[10:11], off offset:816
	s_waitcnt lgkmcnt(0)
	global_store_dwordx2 v[0:1], v[2:3], off offset:1824
	s_and_b64 exec, exec, vcc
	s_cbranch_execz .LBB0_28
; %bb.27:
	ds_read_b64 v[0:1], v25 offset:15120
	v_add_co_u32_e32 v2, vcc, 0x3000, v26
	s_nop 1
	v_addc_co_u32_e32 v3, vcc, 0, v27, vcc
	s_waitcnt lgkmcnt(0)
	global_store_dwordx2 v[2:3], v[0:1], off offset:2832
.LBB0_28:
	s_endpgm
	.section	.rodata,"a",@progbits
	.p2align	6, 0x0
	.amdhsa_kernel fft_rtc_fwd_len1890_factors_2_3_3_3_7_5_wgs_126_tpt_126_halfLds_sp_ip_CI_unitstride_sbrr_R2C_dirReg
		.amdhsa_group_segment_fixed_size 0
		.amdhsa_private_segment_fixed_size 0
		.amdhsa_kernarg_size 88
		.amdhsa_user_sgpr_count 2
		.amdhsa_user_sgpr_dispatch_ptr 0
		.amdhsa_user_sgpr_queue_ptr 0
		.amdhsa_user_sgpr_kernarg_segment_ptr 1
		.amdhsa_user_sgpr_dispatch_id 0
		.amdhsa_user_sgpr_kernarg_preload_length 0
		.amdhsa_user_sgpr_kernarg_preload_offset 0
		.amdhsa_user_sgpr_private_segment_size 0
		.amdhsa_uses_dynamic_stack 0
		.amdhsa_enable_private_segment 0
		.amdhsa_system_sgpr_workgroup_id_x 1
		.amdhsa_system_sgpr_workgroup_id_y 0
		.amdhsa_system_sgpr_workgroup_id_z 0
		.amdhsa_system_sgpr_workgroup_info 0
		.amdhsa_system_vgpr_workitem_id 0
		.amdhsa_next_free_vgpr 118
		.amdhsa_next_free_sgpr 22
		.amdhsa_accum_offset 120
		.amdhsa_reserve_vcc 1
		.amdhsa_float_round_mode_32 0
		.amdhsa_float_round_mode_16_64 0
		.amdhsa_float_denorm_mode_32 3
		.amdhsa_float_denorm_mode_16_64 3
		.amdhsa_dx10_clamp 1
		.amdhsa_ieee_mode 1
		.amdhsa_fp16_overflow 0
		.amdhsa_tg_split 0
		.amdhsa_exception_fp_ieee_invalid_op 0
		.amdhsa_exception_fp_denorm_src 0
		.amdhsa_exception_fp_ieee_div_zero 0
		.amdhsa_exception_fp_ieee_overflow 0
		.amdhsa_exception_fp_ieee_underflow 0
		.amdhsa_exception_fp_ieee_inexact 0
		.amdhsa_exception_int_div_zero 0
	.end_amdhsa_kernel
	.text
.Lfunc_end0:
	.size	fft_rtc_fwd_len1890_factors_2_3_3_3_7_5_wgs_126_tpt_126_halfLds_sp_ip_CI_unitstride_sbrr_R2C_dirReg, .Lfunc_end0-fft_rtc_fwd_len1890_factors_2_3_3_3_7_5_wgs_126_tpt_126_halfLds_sp_ip_CI_unitstride_sbrr_R2C_dirReg
                                        ; -- End function
	.section	.AMDGPU.csdata,"",@progbits
; Kernel info:
; codeLenInByte = 11984
; NumSgprs: 28
; NumVgprs: 118
; NumAgprs: 0
; TotalNumVgprs: 118
; ScratchSize: 0
; MemoryBound: 0
; FloatMode: 240
; IeeeMode: 1
; LDSByteSize: 0 bytes/workgroup (compile time only)
; SGPRBlocks: 3
; VGPRBlocks: 14
; NumSGPRsForWavesPerEU: 28
; NumVGPRsForWavesPerEU: 118
; AccumOffset: 120
; Occupancy: 4
; WaveLimiterHint : 1
; COMPUTE_PGM_RSRC2:SCRATCH_EN: 0
; COMPUTE_PGM_RSRC2:USER_SGPR: 2
; COMPUTE_PGM_RSRC2:TRAP_HANDLER: 0
; COMPUTE_PGM_RSRC2:TGID_X_EN: 1
; COMPUTE_PGM_RSRC2:TGID_Y_EN: 0
; COMPUTE_PGM_RSRC2:TGID_Z_EN: 0
; COMPUTE_PGM_RSRC2:TIDIG_COMP_CNT: 0
; COMPUTE_PGM_RSRC3_GFX90A:ACCUM_OFFSET: 29
; COMPUTE_PGM_RSRC3_GFX90A:TG_SPLIT: 0
	.text
	.p2alignl 6, 3212836864
	.fill 256, 4, 3212836864
	.type	__hip_cuid_fe7173a689955a20,@object ; @__hip_cuid_fe7173a689955a20
	.section	.bss,"aw",@nobits
	.globl	__hip_cuid_fe7173a689955a20
__hip_cuid_fe7173a689955a20:
	.byte	0                               ; 0x0
	.size	__hip_cuid_fe7173a689955a20, 1

	.ident	"AMD clang version 19.0.0git (https://github.com/RadeonOpenCompute/llvm-project roc-6.4.0 25133 c7fe45cf4b819c5991fe208aaa96edf142730f1d)"
	.section	".note.GNU-stack","",@progbits
	.addrsig
	.addrsig_sym __hip_cuid_fe7173a689955a20
	.amdgpu_metadata
---
amdhsa.kernels:
  - .agpr_count:     0
    .args:
      - .actual_access:  read_only
        .address_space:  global
        .offset:         0
        .size:           8
        .value_kind:     global_buffer
      - .offset:         8
        .size:           8
        .value_kind:     by_value
      - .actual_access:  read_only
        .address_space:  global
        .offset:         16
        .size:           8
        .value_kind:     global_buffer
      - .actual_access:  read_only
        .address_space:  global
        .offset:         24
        .size:           8
        .value_kind:     global_buffer
      - .offset:         32
        .size:           8
        .value_kind:     by_value
      - .actual_access:  read_only
        .address_space:  global
        .offset:         40
        .size:           8
        .value_kind:     global_buffer
      - .actual_access:  read_only
        .address_space:  global
        .offset:         48
        .size:           8
        .value_kind:     global_buffer
      - .offset:         56
        .size:           4
        .value_kind:     by_value
      - .actual_access:  read_only
        .address_space:  global
        .offset:         64
        .size:           8
        .value_kind:     global_buffer
      - .actual_access:  read_only
        .address_space:  global
        .offset:         72
        .size:           8
        .value_kind:     global_buffer
      - .address_space:  global
        .offset:         80
        .size:           8
        .value_kind:     global_buffer
    .group_segment_fixed_size: 0
    .kernarg_segment_align: 8
    .kernarg_segment_size: 88
    .language:       OpenCL C
    .language_version:
      - 2
      - 0
    .max_flat_workgroup_size: 126
    .name:           fft_rtc_fwd_len1890_factors_2_3_3_3_7_5_wgs_126_tpt_126_halfLds_sp_ip_CI_unitstride_sbrr_R2C_dirReg
    .private_segment_fixed_size: 0
    .sgpr_count:     28
    .sgpr_spill_count: 0
    .symbol:         fft_rtc_fwd_len1890_factors_2_3_3_3_7_5_wgs_126_tpt_126_halfLds_sp_ip_CI_unitstride_sbrr_R2C_dirReg.kd
    .uniform_work_group_size: 1
    .uses_dynamic_stack: false
    .vgpr_count:     118
    .vgpr_spill_count: 0
    .wavefront_size: 64
amdhsa.target:   amdgcn-amd-amdhsa--gfx950
amdhsa.version:
  - 1
  - 2
...

	.end_amdgpu_metadata
